;; amdgpu-corpus repo=ROCm/rocFFT kind=compiled arch=gfx1030 opt=O3
	.text
	.amdgcn_target "amdgcn-amd-amdhsa--gfx1030"
	.amdhsa_code_object_version 6
	.protected	fft_rtc_fwd_len112_factors_4_4_7_wgs_133_tpt_7_dim2_sp_ip_CI_sbcc_twdbase8_2step_dirReg ; -- Begin function fft_rtc_fwd_len112_factors_4_4_7_wgs_133_tpt_7_dim2_sp_ip_CI_sbcc_twdbase8_2step_dirReg
	.globl	fft_rtc_fwd_len112_factors_4_4_7_wgs_133_tpt_7_dim2_sp_ip_CI_sbcc_twdbase8_2step_dirReg
	.p2align	8
	.type	fft_rtc_fwd_len112_factors_4_4_7_wgs_133_tpt_7_dim2_sp_ip_CI_sbcc_twdbase8_2step_dirReg,@function
fft_rtc_fwd_len112_factors_4_4_7_wgs_133_tpt_7_dim2_sp_ip_CI_sbcc_twdbase8_2step_dirReg: ; @fft_rtc_fwd_len112_factors_4_4_7_wgs_133_tpt_7_dim2_sp_ip_CI_sbcc_twdbase8_2step_dirReg
; %bb.0:
	s_load_dwordx4 s[0:3], s[4:5], 0x10
	s_mov_b64 s[20:21], 0
	s_waitcnt lgkmcnt(0)
	s_load_dwordx2 s[14:15], s[0:1], 0x8
	s_waitcnt lgkmcnt(0)
	s_add_u32 s0, s14, -1
	s_addc_u32 s1, s15, -1
	s_add_u32 s7, 0, 0x50d6f500
	s_addc_u32 s8, 0, 46
	s_mul_hi_u32 s10, s7, 0xffffffed
	s_add_i32 s8, s8, 0xd794330
	s_sub_i32 s10, s10, s7
	s_mul_i32 s12, s8, 0xffffffed
	s_mul_i32 s9, s7, 0xffffffed
	s_add_i32 s10, s10, s12
	s_mul_hi_u32 s11, s7, s9
	s_mul_i32 s16, s7, s10
	s_mul_hi_u32 s12, s7, s10
	s_mul_hi_u32 s13, s8, s9
	s_mul_i32 s9, s8, s9
	s_add_u32 s11, s11, s16
	s_addc_u32 s12, 0, s12
	s_mul_hi_u32 s17, s8, s10
	s_add_u32 s9, s11, s9
	s_mul_i32 s10, s8, s10
	s_addc_u32 s9, s12, s13
	s_addc_u32 s11, s17, 0
	s_add_u32 s9, s9, s10
	v_add_co_u32 v1, s7, s7, s9
	s_addc_u32 s9, 0, s11
	s_cmp_lg_u32 s7, 0
	s_addc_u32 s7, s8, s9
	v_readfirstlane_b32 s8, v1
	s_mul_i32 s10, s0, s7
	s_mul_hi_u32 s9, s0, s7
	s_mul_hi_u32 s11, s1, s7
	s_mul_i32 s7, s1, s7
	s_mul_hi_u32 s12, s0, s8
	s_mul_hi_u32 s13, s1, s8
	s_mul_i32 s8, s1, s8
	s_add_u32 s10, s12, s10
	s_addc_u32 s9, 0, s9
	s_add_u32 s8, s10, s8
	s_addc_u32 s8, s9, s13
	s_addc_u32 s9, s11, 0
	s_add_u32 s8, s8, s7
	s_addc_u32 s9, 0, s9
	s_mul_i32 s10, s8, 19
	s_add_u32 s7, s8, 1
	v_sub_co_u32 v1, s0, s0, s10
	s_mul_hi_u32 s10, s8, 19
	s_addc_u32 s11, s9, 0
	s_mul_i32 s12, s9, 19
	v_sub_co_u32 v2, s13, v1, 19
	s_add_u32 s16, s8, 2
	s_addc_u32 s17, s9, 0
	s_add_i32 s10, s10, s12
	s_cmp_lg_u32 s0, 0
	v_readfirstlane_b32 s0, v2
	s_subb_u32 s1, s1, s10
	s_cmp_lg_u32 s13, 0
	s_load_dwordx2 s[12:13], s[2:3], 0x0
	s_subb_u32 s10, s1, 0
	s_cmp_gt_u32 s0, 18
	s_cselect_b32 s0, -1, 0
	s_cmp_eq_u32 s10, 0
	v_readfirstlane_b32 s10, v1
	s_cselect_b32 s0, s0, -1
	s_cmp_lg_u32 s0, 0
	s_cselect_b32 s0, s16, s7
	s_cselect_b32 s11, s17, s11
	s_cmp_gt_u32 s10, 18
	s_load_dwordx2 s[16:17], s[4:5], 0x50
	s_cselect_b32 s7, -1, 0
	s_cmp_eq_u32 s1, 0
	s_cselect_b32 s1, s7, -1
	s_mov_b32 s7, 0
	s_cmp_lg_u32 s1, 0
	s_cselect_b32 s0, s0, s8
	s_cselect_b32 s1, s11, s9
	s_add_u32 s0, s0, 1
	s_addc_u32 s1, s1, 0
	v_cmp_lt_u64_e64 s8, s[6:7], s[0:1]
	s_mov_b32 s7, -1
	s_and_b32 vcc_lo, exec_lo, s8
	s_cbranch_vccnz .LBB0_2
; %bb.1:
	v_cvt_f32_u32_e32 v1, s0
	s_sub_i32 s9, 0, s0
	v_rcp_iflag_f32_e32 v1, v1
	v_mul_f32_e32 v1, 0x4f7ffffe, v1
	v_cvt_u32_f32_e32 v1, v1
	v_readfirstlane_b32 s8, v1
	s_mul_i32 s9, s9, s8
	s_mul_hi_u32 s9, s8, s9
	s_add_i32 s8, s8, s9
	s_mul_hi_u32 s8, s6, s8
	s_mul_i32 s9, s8, s0
	s_add_i32 s10, s8, 1
	s_sub_i32 s9, s6, s9
	s_sub_i32 s11, s9, s0
	s_cmp_ge_u32 s9, s0
	s_cselect_b32 s8, s10, s8
	s_cselect_b32 s9, s11, s9
	s_add_i32 s10, s8, 1
	s_cmp_ge_u32 s9, s0
	s_cselect_b32 s20, s10, s8
.LBB0_2:
	s_load_dwordx4 s[8:11], s[2:3], 0x8
	v_mul_u32_u24_e32 v1, 0xd7a, v0
	s_mul_i32 s1, s20, s1
	s_mul_hi_u32 s2, s20, s0
	s_mul_i32 s0, s20, s0
	s_add_i32 s2, s2, s1
	v_lshrrev_b32_e32 v94, 16, v1
	s_sub_u32 s0, s6, s0
	s_subb_u32 s1, 0, s2
	s_load_dwordx2 s[18:19], s[4:5], 0x0
	s_mul_hi_u32 s2, s0, 19
	v_mul_lo_u16 v1, v94, 19
	s_mul_i32 s1, s1, 19
	s_mul_i32 s6, s0, 19
	s_add_i32 s21, s2, s1
	v_add_nc_u32_e32 v34, 7, v94
	v_sub_nc_u16 v33, v0, v1
	v_add_nc_u32_e32 v35, 14, v94
	v_add_nc_u32_e32 v36, 21, v94
	s_waitcnt lgkmcnt(0)
	s_mul_i32 s1, s6, s9
	s_mul_hi_u32 s2, s6, s8
	s_mul_i32 s0, s21, s8
	s_mul_i32 s11, s11, s20
	s_mul_hi_u32 s22, s10, s20
	s_add_i32 s1, s2, s1
	s_mul_i32 s3, s6, s8
	s_mul_i32 s2, s10, s20
	s_add_i32 s1, s1, s0
	s_add_i32 s22, s22, s11
	s_add_u32 s2, s2, s3
	s_addc_u32 s3, s22, s1
	v_and_b32_e32 v95, 0xffff, v33
	s_add_u32 s0, s6, 19
	s_addc_u32 s1, s21, 0
	v_cmp_gt_u64_e64 s10, s[0:1], s[14:15]
	v_add_co_u32 v49, s6, s6, v95
	v_cmp_le_u64_e64 s1, s[0:1], s[14:15]
	v_add_co_ci_u32_e64 v50, null, s21, 0, s6
	s_and_b32 vcc_lo, exec_lo, s10
	s_cbranch_vccnz .LBB0_4
; %bb.3:
	v_mad_u64_u32 v[1:2], null, s8, v95, 0
	v_mad_u64_u32 v[3:4], null, s12, v94, 0
	v_add_nc_u32_e32 v12, 28, v94
	v_add_nc_u32_e32 v14, 56, v94
	s_lshl_b64 s[6:7], s[2:3], 3
	v_add_nc_u32_e32 v15, 0x54, v94
	s_add_u32 s0, s16, s6
	s_addc_u32 s6, s17, s7
	v_mad_u64_u32 v[5:6], null, s9, v95, v[2:3]
	v_mad_u64_u32 v[6:7], null, s12, v12, 0
	;; [unrolled: 1-line block ×4, first 2 shown]
	v_mov_b32_e32 v2, v5
	v_mad_u64_u32 v[4:5], null, s13, v94, v[4:5]
	v_mov_b32_e32 v5, v7
	v_add_nc_u32_e32 v51, 7, v94
	v_lshlrev_b64 v[1:2], 3, v[1:2]
	v_add_nc_u32_e32 v24, 0x5b, v94
	v_add_nc_u32_e32 v96, 14, v94
	v_mad_u64_u32 v[12:13], null, s13, v12, v[5:6]
	v_mov_b32_e32 v5, v9
	v_add_co_u32 v45, vcc_lo, s0, v1
	v_add_co_ci_u32_e32 v46, vcc_lo, s6, v2, vcc_lo
	v_lshlrev_b64 v[1:2], 3, v[3:4]
	v_mad_u64_u32 v[3:4], null, s13, v14, v[5:6]
	v_mov_b32_e32 v7, v12
	v_mad_u64_u32 v[12:13], null, s12, v51, 0
	v_mov_b32_e32 v4, v11
	v_add_co_u32 v1, vcc_lo, v45, v1
	v_lshlrev_b64 v[5:6], 3, v[6:7]
	v_mov_b32_e32 v9, v3
	v_add_co_ci_u32_e32 v2, vcc_lo, v46, v2, vcc_lo
	v_mov_b32_e32 v3, v13
	v_add_nc_u32_e32 v26, 42, v94
	v_mad_u64_u32 v[14:15], null, s13, v15, v[4:5]
	v_add_co_u32 v15, vcc_lo, v45, v5
	v_lshlrev_b64 v[4:5], 3, v[8:9]
	v_add_co_ci_u32_e32 v16, vcc_lo, v46, v6, vcc_lo
	v_add_nc_u32_e32 v28, 0x46, v94
	v_mov_b32_e32 v11, v14
	v_add_nc_u32_e32 v14, 35, v94
	v_mad_u64_u32 v[6:7], null, s13, v51, v[3:4]
	v_add_co_u32 v7, vcc_lo, v45, v4
	v_add_co_ci_u32_e32 v8, vcc_lo, v46, v5, vcc_lo
	v_add_nc_u32_e32 v5, 63, v94
	v_lshlrev_b64 v[3:4], 3, v[10:11]
	v_mad_u64_u32 v[9:10], null, s12, v14, 0
	v_mov_b32_e32 v13, v6
	v_mad_u64_u32 v[17:18], null, s12, v5, 0
	v_add_co_u32 v19, vcc_lo, v45, v3
	v_add_co_ci_u32_e32 v20, vcc_lo, v46, v4, vcc_lo
	v_mov_b32_e32 v3, v10
	v_lshlrev_b64 v[11:12], 3, v[12:13]
	v_mov_b32_e32 v4, v18
	v_add_nc_u32_e32 v29, 0x62, v94
	v_add_nc_u32_e32 v37, 21, v94
	;; [unrolled: 1-line block ×4, first 2 shown]
	v_mad_u64_u32 v[13:14], null, s13, v14, v[3:4]
	v_mad_u64_u32 v[21:22], null, s13, v5, v[4:5]
	v_mad_u64_u32 v[22:23], null, s12, v24, 0
	s_clause 0x3
	global_load_dwordx2 v[5:6], v[1:2], off
	global_load_dwordx2 v[3:4], v[15:16], off
	;; [unrolled: 1-line block ×4, first 2 shown]
	v_add_co_u32 v11, vcc_lo, v45, v11
	v_mov_b32_e32 v10, v13
	v_mov_b32_e32 v18, v21
	v_add_co_ci_u32_e32 v12, vcc_lo, v46, v12, vcc_lo
	v_mov_b32_e32 v13, v23
	v_lshlrev_b64 v[9:10], 3, v[9:10]
	v_mad_u64_u32 v[20:21], null, s12, v26, 0
	v_add_nc_u32_e32 v47, 0x69, v94
	v_mad_u64_u32 v[13:14], null, s13, v24, v[13:14]
	v_lshlrev_b64 v[14:15], 3, v[17:18]
	v_mad_u64_u32 v[17:18], null, s12, v96, 0
	v_add_co_u32 v9, vcc_lo, v45, v9
	v_add_co_ci_u32_e32 v10, vcc_lo, v46, v10, vcc_lo
	v_mov_b32_e32 v23, v13
	v_add_co_u32 v13, vcc_lo, v45, v14
	v_add_co_ci_u32_e32 v14, vcc_lo, v46, v15, vcc_lo
	v_mov_b32_e32 v15, v18
	v_lshlrev_b64 v[18:19], 3, v[22:23]
	v_mad_u64_u32 v[24:25], null, s12, v28, 0
	v_mad_u64_u32 v[15:16], null, s13, v96, v[15:16]
	v_mov_b32_e32 v16, v21
	v_add_co_u32 v22, vcc_lo, v45, v18
	v_add_co_ci_u32_e32 v23, vcc_lo, v46, v19, vcc_lo
	v_mad_u64_u32 v[26:27], null, s13, v26, v[16:17]
	v_mov_b32_e32 v19, v25
	v_mov_b32_e32 v18, v15
	s_clause 0x3
	global_load_dwordx2 v[11:12], v[11:12], off
	global_load_dwordx2 v[9:10], v[9:10], off
	;; [unrolled: 1-line block ×4, first 2 shown]
	v_mad_u64_u32 v[22:23], null, s13, v28, v[19:20]
	v_mov_b32_e32 v21, v26
	v_mad_u64_u32 v[26:27], null, s12, v29, 0
	v_lshlrev_b64 v[17:18], 3, v[17:18]
	v_lshlrev_b64 v[19:20], 3, v[20:21]
	v_mov_b32_e32 v25, v22
	v_mad_u64_u32 v[22:23], null, s12, v37, 0
	v_mov_b32_e32 v21, v27
	v_add_co_u32 v17, vcc_lo, v45, v17
	v_add_co_ci_u32_e32 v18, vcc_lo, v46, v18, vcc_lo
	v_add_co_u32 v19, vcc_lo, v45, v19
	v_mad_u64_u32 v[27:28], null, s13, v29, v[21:22]
	v_mad_u64_u32 v[28:29], null, s12, v38, 0
	v_mov_b32_e32 v21, v23
	v_lshlrev_b64 v[23:24], 3, v[24:25]
	v_add_co_ci_u32_e32 v20, vcc_lo, v46, v20, vcc_lo
	v_mad_u64_u32 v[30:31], null, s13, v37, v[21:22]
	v_mov_b32_e32 v21, v29
	v_mad_u64_u32 v[31:32], null, s12, v43, 0
	v_add_co_u32 v41, vcc_lo, v45, v23
	v_mad_u64_u32 v[38:39], null, s13, v38, v[21:22]
	v_mad_u64_u32 v[39:40], null, s12, v47, 0
	v_mov_b32_e32 v21, v32
	v_mov_b32_e32 v23, v30
	v_add_co_ci_u32_e32 v42, vcc_lo, v46, v24, vcc_lo
	v_lshlrev_b64 v[24:25], 3, v[26:27]
	v_mad_u64_u32 v[26:27], null, s13, v43, v[21:22]
	v_lshlrev_b64 v[22:23], 3, v[22:23]
	v_mov_b32_e32 v21, v40
	v_mov_b32_e32 v29, v38
	v_add_co_u32 v43, vcc_lo, v45, v24
	v_add_co_ci_u32_e32 v44, vcc_lo, v46, v25, vcc_lo
	v_mad_u64_u32 v[24:25], null, s13, v47, v[21:22]
	v_lshlrev_b64 v[27:28], 3, v[28:29]
	v_mov_b32_e32 v32, v26
	v_add_co_u32 v21, vcc_lo, v45, v22
	v_add_co_ci_u32_e32 v22, vcc_lo, v46, v23, vcc_lo
	v_mov_b32_e32 v40, v24
	v_lshlrev_b64 v[25:26], 3, v[31:32]
	v_add_co_u32 v23, vcc_lo, v45, v27
	v_add_co_ci_u32_e32 v24, vcc_lo, v46, v28, vcc_lo
	v_lshlrev_b64 v[27:28], 3, v[39:40]
	v_add_co_u32 v38, vcc_lo, v45, v25
	v_add_co_ci_u32_e32 v39, vcc_lo, v46, v26, vcc_lo
	v_add_co_u32 v45, vcc_lo, v45, v27
	v_add_co_ci_u32_e32 v46, vcc_lo, v46, v28, vcc_lo
	s_clause 0x7
	global_load_dwordx2 v[27:28], v[17:18], off
	global_load_dwordx2 v[25:26], v[19:20], off
	;; [unrolled: 1-line block ×8, first 2 shown]
	s_cbranch_execz .LBB0_5
	s_branch .LBB0_10
.LBB0_4:
                                        ; implicit-def: $vgpr1
                                        ; implicit-def: $vgpr23
                                        ; implicit-def: $vgpr21
                                        ; implicit-def: $vgpr17
                                        ; implicit-def: $vgpr19
                                        ; implicit-def: $vgpr29
                                        ; implicit-def: $vgpr31
                                        ; implicit-def: $vgpr25
                                        ; implicit-def: $vgpr27
                                        ; implicit-def: $vgpr13
                                        ; implicit-def: $vgpr15
                                        ; implicit-def: $vgpr9
                                        ; implicit-def: $vgpr11
                                        ; implicit-def: $vgpr7
                                        ; implicit-def: $vgpr3
                                        ; implicit-def: $vgpr5
                                        ; implicit-def: $vgpr51
                                        ; implicit-def: $vgpr96
                                        ; implicit-def: $vgpr37
	s_andn2_b32 vcc_lo, exec_lo, s7
	s_cbranch_vccnz .LBB0_10
.LBB0_5:
	s_mov_b32 s0, exec_lo
                                        ; implicit-def: $vgpr51
                                        ; implicit-def: $vgpr96
                                        ; implicit-def: $vgpr37
	v_cmpx_le_u64_e64 s[14:15], v[49:50]
	s_xor_b32 s0, exec_lo, s0
; %bb.6:
	v_add_nc_u32_e32 v51, 7, v94
	v_add_nc_u32_e32 v96, 14, v94
	;; [unrolled: 1-line block ×3, first 2 shown]
                                        ; implicit-def: $vgpr34
                                        ; implicit-def: $vgpr35
                                        ; implicit-def: $vgpr36
; %bb.7:
	s_or_saveexec_b32 s0, s0
                                        ; implicit-def: $vgpr1
                                        ; implicit-def: $vgpr23
                                        ; implicit-def: $vgpr21
                                        ; implicit-def: $vgpr17
                                        ; implicit-def: $vgpr19
                                        ; implicit-def: $vgpr29
                                        ; implicit-def: $vgpr31
                                        ; implicit-def: $vgpr25
                                        ; implicit-def: $vgpr27
                                        ; implicit-def: $vgpr13
                                        ; implicit-def: $vgpr15
                                        ; implicit-def: $vgpr9
                                        ; implicit-def: $vgpr11
                                        ; implicit-def: $vgpr7
                                        ; implicit-def: $vgpr3
                                        ; implicit-def: $vgpr5
	s_xor_b32 exec_lo, exec_lo, s0
	s_cbranch_execz .LBB0_9
; %bb.8:
	s_waitcnt vmcnt(12)
	v_mad_u64_u32 v[1:2], null, s8, v95, 0
	v_mad_u64_u32 v[3:4], null, s12, v94, 0
	s_waitcnt vmcnt(11)
	v_add_nc_u32_e32 v12, 28, v94
	s_waitcnt vmcnt(8)
	v_add_nc_u32_e32 v14, 56, v94
	v_add_nc_u32_e32 v15, 0x54, v94
	s_lshl_b64 s[6:7], s[2:3], 3
	s_waitcnt vmcnt(1)
	v_add_nc_u32_e32 v22, 63, v94
	s_add_u32 s6, s16, s6
	v_mad_u64_u32 v[5:6], null, s9, v95, v[2:3]
	v_mad_u64_u32 v[6:7], null, s12, v12, 0
	;; [unrolled: 1-line block ×3, first 2 shown]
	s_addc_u32 s7, s17, s7
	v_mad_u64_u32 v[10:11], null, s12, v15, 0
	v_mov_b32_e32 v2, v5
	v_mad_u64_u32 v[4:5], null, s13, v94, v[4:5]
	v_mov_b32_e32 v5, v7
	v_mov_b32_e32 v7, v9
	v_lshlrev_b64 v[1:2], 3, v[1:2]
	s_waitcnt vmcnt(0)
	v_add_nc_u32_e32 v23, 0x5b, v94
	v_add_nc_u32_e32 v30, 0x46, v94
	v_mad_u64_u32 v[12:13], null, s13, v12, v[5:6]
	v_add_nc_u32_e32 v41, 0x4d, v94
	v_add_co_u32 v46, vcc_lo, s6, v1
	v_add_co_ci_u32_e32 v47, vcc_lo, s7, v2, vcc_lo
	v_lshlrev_b64 v[1:2], 3, v[3:4]
	v_mad_u64_u32 v[3:4], null, s13, v14, v[7:8]
	v_mov_b32_e32 v7, v12
	v_mov_b32_e32 v4, v11
	v_mad_u64_u32 v[12:13], null, s12, v34, 0
	v_add_co_u32 v1, vcc_lo, v46, v1
	v_lshlrev_b64 v[5:6], 3, v[6:7]
	v_mov_b32_e32 v9, v3
	v_add_co_ci_u32_e32 v2, vcc_lo, v47, v2, vcc_lo
	v_mad_u64_u32 v[37:38], null, s12, v41, 0
	v_mad_u64_u32 v[3:4], null, s13, v15, v[4:5]
	v_add_co_u32 v14, vcc_lo, v46, v5
	v_lshlrev_b64 v[4:5], 3, v[8:9]
	v_add_co_ci_u32_e32 v15, vcc_lo, v47, v6, vcc_lo
	v_add_nc_u32_e32 v6, 35, v94
	v_mov_b32_e32 v11, v3
	v_mov_b32_e32 v3, v13
	v_add_co_u32 v7, vcc_lo, v46, v4
	v_add_co_ci_u32_e32 v8, vcc_lo, v47, v5, vcc_lo
	v_lshlrev_b64 v[4:5], 3, v[10:11]
	v_mad_u64_u32 v[16:17], null, s12, v6, 0
	v_mov_b32_e32 v51, v34
	v_mov_b32_e32 v96, v35
	v_mad_u64_u32 v[9:10], null, s13, v34, v[3:4]
	v_mad_u64_u32 v[10:11], null, s12, v22, 0
	v_mov_b32_e32 v3, v17
	v_add_co_u32 v17, vcc_lo, v46, v4
	v_add_co_ci_u32_e32 v18, vcc_lo, v47, v5, vcc_lo
	v_mad_u64_u32 v[19:20], null, s13, v6, v[3:4]
	v_mov_b32_e32 v13, v9
	v_mov_b32_e32 v9, v11
	v_mad_u64_u32 v[20:21], null, s12, v23, 0
	s_clause 0x3
	global_load_dwordx2 v[5:6], v[1:2], off
	global_load_dwordx2 v[3:4], v[14:15], off
	;; [unrolled: 1-line block ×4, first 2 shown]
	v_lshlrev_b64 v[11:12], 3, v[12:13]
	v_mad_u64_u32 v[13:14], null, s13, v22, v[9:10]
	v_mov_b32_e32 v17, v19
	v_mad_u64_u32 v[18:19], null, s12, v35, 0
	v_mov_b32_e32 v9, v21
	v_add_co_u32 v14, vcc_lo, v46, v11
	v_add_co_ci_u32_e32 v15, vcc_lo, v47, v12, vcc_lo
	v_mov_b32_e32 v11, v13
	v_mad_u64_u32 v[12:13], null, s13, v23, v[9:10]
	v_add_nc_u32_e32 v13, 42, v94
	v_lshlrev_b64 v[16:17], 3, v[16:17]
	v_lshlrev_b64 v[9:10], 3, v[10:11]
	v_mov_b32_e32 v11, v19
	v_mad_u64_u32 v[22:23], null, s12, v13, 0
	v_add_co_u32 v16, vcc_lo, v46, v16
	v_mov_b32_e32 v21, v12
	v_add_co_ci_u32_e32 v17, vcc_lo, v47, v17, vcc_lo
	v_add_co_u32 v24, vcc_lo, v46, v9
	v_mad_u64_u32 v[11:12], null, s13, v35, v[11:12]
	v_add_co_ci_u32_e32 v25, vcc_lo, v47, v10, vcc_lo
	v_lshlrev_b64 v[9:10], 3, v[20:21]
	v_mov_b32_e32 v12, v23
	v_mad_u64_u32 v[20:21], null, s12, v30, 0
	v_mov_b32_e32 v19, v11
	v_mad_u64_u32 v[28:29], null, s13, v13, v[12:13]
	v_add_co_u32 v26, vcc_lo, v46, v9
	v_add_nc_u32_e32 v29, 0x62, v94
	v_add_co_ci_u32_e32 v27, vcc_lo, v47, v10, vcc_lo
	s_clause 0x3
	global_load_dwordx2 v[11:12], v[14:15], off
	global_load_dwordx2 v[9:10], v[16:17], off
	;; [unrolled: 1-line block ×4, first 2 shown]
	v_mad_u64_u32 v[24:25], null, s13, v30, v[21:22]
	v_mad_u64_u32 v[25:26], null, s12, v29, 0
	v_lshlrev_b64 v[17:18], 3, v[18:19]
	v_mov_b32_e32 v23, v28
	v_mad_u64_u32 v[27:28], null, s12, v36, 0
	v_mov_b32_e32 v21, v24
	v_add_nc_u32_e32 v24, 49, v94
	v_mov_b32_e32 v19, v26
	v_lshlrev_b64 v[22:23], 3, v[22:23]
	v_add_co_u32 v17, vcc_lo, v46, v17
	v_add_co_ci_u32_e32 v18, vcc_lo, v47, v18, vcc_lo
	v_mad_u64_u32 v[29:30], null, s13, v29, v[19:20]
	v_mad_u64_u32 v[30:31], null, s12, v24, 0
	v_lshlrev_b64 v[20:21], 3, v[20:21]
	v_mov_b32_e32 v19, v28
	v_add_co_u32 v22, vcc_lo, v46, v22
	v_mov_b32_e32 v26, v29
	v_add_co_ci_u32_e32 v23, vcc_lo, v47, v23, vcc_lo
	v_mad_u64_u32 v[28:29], null, s13, v36, v[19:20]
	v_add_nc_u32_e32 v29, 0x69, v94
	v_mov_b32_e32 v19, v31
	v_mad_u64_u32 v[39:40], null, s12, v29, 0
	v_mad_u64_u32 v[31:32], null, s13, v24, v[19:20]
	v_add_co_u32 v19, vcc_lo, v46, v20
	v_add_co_ci_u32_e32 v20, vcc_lo, v47, v21, vcc_lo
	v_mov_b32_e32 v21, v38
	v_lshlrev_b64 v[24:25], 3, v[25:26]
	v_mad_u64_u32 v[41:42], null, s13, v41, v[21:22]
	v_mov_b32_e32 v21, v40
	v_add_co_u32 v42, vcc_lo, v46, v24
	v_add_co_ci_u32_e32 v43, vcc_lo, v47, v25, vcc_lo
	v_lshlrev_b64 v[24:25], 3, v[27:28]
	v_mad_u64_u32 v[26:27], null, s13, v29, v[21:22]
	v_mov_b32_e32 v38, v41
	v_lshlrev_b64 v[27:28], 3, v[30:31]
	v_add_co_u32 v44, vcc_lo, v46, v24
	v_add_co_ci_u32_e32 v45, vcc_lo, v47, v25, vcc_lo
	v_mov_b32_e32 v40, v26
	v_lshlrev_b64 v[24:25], 3, v[37:38]
	v_add_co_u32 v37, vcc_lo, v46, v27
	v_add_co_ci_u32_e32 v38, vcc_lo, v47, v28, vcc_lo
	v_lshlrev_b64 v[26:27], 3, v[39:40]
	v_add_co_u32 v39, vcc_lo, v46, v24
	v_add_co_ci_u32_e32 v40, vcc_lo, v47, v25, vcc_lo
	v_add_co_u32 v46, vcc_lo, v46, v26
	v_add_co_ci_u32_e32 v47, vcc_lo, v47, v27, vcc_lo
	s_clause 0x7
	global_load_dwordx2 v[27:28], v[17:18], off
	global_load_dwordx2 v[25:26], v[22:23], off
	;; [unrolled: 1-line block ×8, first 2 shown]
	v_mov_b32_e32 v37, v36
.LBB0_9:
	s_or_b32 exec_lo, exec_lo, s0
.LBB0_10:
	s_waitcnt vmcnt(13)
	v_sub_f32_e32 v7, v5, v7
	v_sub_f32_e32 v8, v6, v8
	s_waitcnt vmcnt(12)
	v_sub_f32_e32 v34, v3, v1
	v_sub_f32_e32 v35, v4, v2
	s_waitcnt vmcnt(9)
	v_sub_f32_e32 v36, v11, v15
	s_waitcnt vmcnt(8)
	v_sub_f32_e32 v15, v9, v13
	v_sub_f32_e32 v13, v10, v14
	v_fma_f32 v1, v3, 2.0, -v34
	v_fma_f32 v2, v4, 2.0, -v35
	v_sub_f32_e32 v3, v7, v35
	v_add_f32_e32 v4, v8, v34
	v_sub_f32_e32 v34, v12, v16
	s_waitcnt vmcnt(5)
	v_sub_f32_e32 v31, v27, v31
	v_sub_f32_e32 v32, v28, v32
	s_waitcnt vmcnt(4)
	v_sub_f32_e32 v35, v25, v29
	v_sub_f32_e32 v29, v26, v30
	v_fma_f32 v10, v10, 2.0, -v13
	v_fma_f32 v27, v27, 2.0, -v31
	;; [unrolled: 1-line block ×5, first 2 shown]
	v_sub_f32_e32 v13, v36, v13
	v_add_f32_e32 v14, v34, v15
	s_waitcnt vmcnt(1)
	v_sub_f32_e32 v38, v20, v22
	s_waitcnt vmcnt(0)
	v_sub_f32_e32 v22, v18, v24
	v_fma_f32 v5, v5, 2.0, -v7
	v_fma_f32 v6, v6, 2.0, -v8
	;; [unrolled: 1-line block ×5, first 2 shown]
	v_sub_f32_e32 v15, v27, v16
	v_sub_f32_e32 v16, v28, v25
	v_fma_f32 v25, v36, 2.0, -v13
	v_fma_f32 v26, v34, 2.0, -v14
	v_sub_f32_e32 v29, v31, v29
	v_sub_f32_e32 v34, v19, v21
	;; [unrolled: 1-line block ×3, first 2 shown]
	v_add_f32_e32 v30, v32, v35
	v_fma_f32 v35, v20, 2.0, -v38
	v_fma_f32 v20, v18, 2.0, -v22
	v_mov_b32_e32 v97, 3
	v_sub_f32_e32 v1, v5, v1
	v_sub_f32_e32 v2, v6, v2
	v_fma_f32 v21, v19, 2.0, -v34
	v_fma_f32 v19, v17, 2.0, -v36
	v_fma_f32 v17, v31, 2.0, -v29
	v_sub_f32_e32 v20, v35, v20
	v_mul_u32_u24_e32 v31, 0x260, v94
	v_lshlrev_b32_sdwa v33, v97, v33 dst_sel:DWORD dst_unused:UNUSED_PAD src0_sel:DWORD src1_sel:WORD_0
	v_sub_f32_e32 v23, v34, v22
	v_fma_f32 v5, v5, 2.0, -v1
	v_fma_f32 v6, v6, 2.0, -v2
	;; [unrolled: 1-line block ×5, first 2 shown]
	v_add3_u32 v35, 0, v31, v33
	v_sub_f32_e32 v9, v11, v9
	v_sub_f32_e32 v10, v12, v10
	v_add_f32_e32 v24, v38, v36
	v_mul_i32_i24_e32 v36, 0x260, v51
	v_fma_f32 v31, v34, 2.0, -v23
	v_mul_i32_i24_e32 v34, 0x260, v96
	ds_write2_b64 v35, v[5:6], v[7:8] offset1:19
	v_mul_i32_i24_e32 v6, 0x260, v37
	v_sub_f32_e32 v19, v21, v19
	v_fma_f32 v11, v11, 2.0, -v9
	v_fma_f32 v12, v12, 2.0, -v10
	v_add3_u32 v5, 0, v36, v33
	v_fma_f32 v27, v27, 2.0, -v15
	v_fma_f32 v28, v28, 2.0, -v16
	;; [unrolled: 1-line block ×3, first 2 shown]
	ds_write2_b64 v35, v[1:2], v[3:4] offset0:38 offset1:57
	v_add3_u32 v1, 0, v34, v33
	v_add3_u32 v3, 0, v6, v33
	v_fma_f32 v21, v21, 2.0, -v19
	v_fma_f32 v32, v38, 2.0, -v24
	v_and_b32_e32 v2, 3, v94
	ds_write2_b64 v5, v[11:12], v[25:26] offset1:19
	ds_write2_b64 v5, v[9:10], v[13:14] offset0:38 offset1:57
	ds_write2_b64 v1, v[27:28], v[17:18] offset1:19
	v_and_b32_e32 v17, 3, v51
	ds_write2_b64 v1, v[15:16], v[29:30] offset0:38 offset1:57
	ds_write2_b64 v3, v[21:22], v[31:32] offset1:19
	ds_write2_b64 v3, v[19:20], v[23:24] offset0:38 offset1:57
	v_and_b32_e32 v19, 3, v96
	v_and_b32_e32 v20, 3, v37
	v_mul_u32_u24_e32 v2, 3, v2
	v_mul_u32_u24_e32 v1, 3, v17
	s_waitcnt lgkmcnt(0)
	v_mul_u32_u24_e32 v5, 3, v19
	v_mul_u32_u24_e32 v9, 3, v20
	v_lshlrev_b32_e32 v18, 3, v2
	v_lshlrev_b32_e32 v21, 3, v1
	s_barrier
	v_lshlrev_b32_e32 v22, 3, v5
	v_lshlrev_b32_e32 v23, 3, v9
	buffer_gl0_inv
	s_clause 0x7
	global_load_dwordx4 v[1:4], v18, s[18:19]
	global_load_dwordx4 v[5:8], v21, s[18:19]
	;; [unrolled: 1-line block ×4, first 2 shown]
	global_load_dwordx2 v[43:44], v18, s[18:19] offset:16
	global_load_dwordx2 v[45:46], v21, s[18:19] offset:16
	;; [unrolled: 1-line block ×4, first 2 shown]
	v_mul_u32_u24_e32 v18, 0x98, v94
	v_lshl_or_b32 v23, v94, 2, v94
	v_lshlrev_b32_e32 v24, 2, v51
	v_lshlrev_b32_e32 v25, 2, v96
	;; [unrolled: 1-line block ×3, first 2 shown]
	v_mul_i32_i24_e32 v21, 0x98, v51
	v_mul_i32_i24_e32 v27, 0x98, v37
	v_and_b32_e32 v23, 51, v23
	v_and_or_b32 v24, 0x7ff0, v24, v17
	v_and_or_b32 v19, 0x7ff0, v25, v19
	;; [unrolled: 1-line block ×3, first 2 shown]
	v_add3_u32 v17, 0, v18, v33
	v_mul_i32_i24_e32 v22, 0x98, v96
	v_add3_u32 v62, 0, v21, v33
	v_add3_u32 v56, 0, v27, v33
	v_mul_u32_u24_e32 v21, 0x98, v23
	v_mul_u32_u24_e32 v23, 0x98, v24
	;; [unrolled: 1-line block ×4, first 2 shown]
	v_add_nc_u32_e32 v63, 0x1000, v17
	v_add_nc_u32_e32 v24, 0x2000, v17
	;; [unrolled: 1-line block ×3, first 2 shown]
	v_add3_u32 v18, 0, v22, v33
	v_add_nc_u32_e32 v31, 0x2800, v17
	v_add3_u32 v65, 0, v21, v33
	ds_read2_b64 v[19:22], v63 offset0:20 offset1:153
	v_add3_u32 v66, 0, v23, v33
	ds_read2_b64 v[23:26], v24 offset0:40 offset1:173
	v_add3_u32 v67, 0, v27, v33
	v_add3_u32 v68, 0, v28, v33
	ds_read2_b64 v[27:30], v29 offset0:30 offset1:163
	v_add_nc_u32_e32 v35, 0x3000, v17
	v_add_nc_u32_e32 v64, 0x3800, v17
	ds_read2_b64 v[31:34], v31 offset0:50 offset1:183
	ds_read2_b64 v[35:38], v35 offset0:60 offset1:193
	;; [unrolled: 1-line block ×3, first 2 shown]
	ds_read_b64 v[54:55], v17
	ds_read_b64 v[56:57], v56
	;; [unrolled: 1-line block ×4, first 2 shown]
	v_add_nc_u32_e32 v69, 0x800, v17
	v_add_nc_u32_e32 v70, 0x1c00, v17
	;; [unrolled: 1-line block ×4, first 2 shown]
	s_waitcnt vmcnt(0) lgkmcnt(0)
	s_barrier
	buffer_gl0_inv
	v_cmp_gt_u32_e64 s0, 38, v0
	s_mov_b32 s6, 0
	v_mul_f32_e32 v77, v28, v10
	v_mul_f32_e32 v10, v27, v10
	;; [unrolled: 1-line block ×24, first 2 shown]
	v_fma_f32 v19, v1, v19, -v73
	v_fmac_f32_e32 v2, v1, v20
	v_fma_f32 v1, v3, v23, -v74
	v_fmac_f32_e32 v4, v3, v24
	;; [unrolled: 2-line block ×12, first 2 shown]
	v_sub_f32_e32 v23, v54, v1
	v_sub_f32_e32 v24, v55, v4
	;; [unrolled: 1-line block ×16, first 2 shown]
	v_fma_f32 v28, v54, 2.0, -v23
	v_fma_f32 v29, v55, 2.0, -v24
	;; [unrolled: 1-line block ×8, first 2 shown]
	v_sub_f32_e32 v3, v15, v8
	v_fma_f32 v34, v60, 2.0, -v20
	v_fma_f32 v35, v61, 2.0, -v26
	v_fma_f32 v36, v7, 2.0, -v9
	v_fma_f32 v37, v10, 2.0, -v12
	v_fma_f32 v38, v56, 2.0, -v21
	v_fma_f32 v39, v57, 2.0, -v27
	v_fma_f32 v40, v11, 2.0, -v13
	v_fma_f32 v41, v14, 2.0, -v16
	v_sub_f32_e32 v1, v23, v1
	v_add_f32_e32 v2, v24, v4
	v_sub_f32_e32 v7, v28, v19
	v_sub_f32_e32 v8, v29, v22
	v_add_f32_e32 v4, v25, v5
	v_sub_f32_e32 v5, v20, v12
	v_add_f32_e32 v6, v26, v9
	v_sub_f32_e32 v11, v30, v32
	v_sub_f32_e32 v12, v31, v33
	;; [unrolled: 1-line block ×3, first 2 shown]
	v_add_f32_e32 v55, v27, v13
	v_fma_f32 v13, v15, 2.0, -v3
	v_sub_f32_e32 v15, v34, v36
	v_sub_f32_e32 v16, v35, v37
	;; [unrolled: 1-line block ×4, first 2 shown]
	v_fma_f32 v9, v23, 2.0, -v1
	v_fma_f32 v10, v24, 2.0, -v2
	;; [unrolled: 1-line block ×15, first 2 shown]
	ds_write2_b64 v65, v[7:8], v[1:2] offset0:152 offset1:228
	ds_write2_b64 v65, v[23:24], v[9:10] offset1:76
	ds_write2_b64 v66, v[25:26], v[13:14] offset1:76
	ds_write2_b64 v66, v[11:12], v[3:4] offset0:152 offset1:228
	ds_write2_b64 v67, v[27:28], v[19:20] offset1:76
	ds_write2_b64 v67, v[15:16], v[5:6] offset0:152 offset1:228
	;; [unrolled: 2-line block ×3, first 2 shown]
	s_waitcnt lgkmcnt(0)
	s_barrier
	buffer_gl0_inv
	ds_read2_b64 v[37:40], v69 offset0:48 offset1:181
	ds_read2_b64 v[33:36], v63 offset0:96 offset1:229
	;; [unrolled: 1-line block ×6, first 2 shown]
	ds_read_b64 v[68:69], v17
	ds_read_b64 v[66:67], v62
                                        ; implicit-def: $vgpr63
                                        ; implicit-def: $vgpr57
                                        ; implicit-def: $vgpr61
                                        ; implicit-def: $vgpr59
                                        ; implicit-def: $vgpr65
	s_and_saveexec_b32 s7, s0
	s_cbranch_execz .LBB0_12
; %bb.11:
	ds_read_b64 v[54:55], v17 offset:4560
	ds_read_b64 v[62:63], v17 offset:6992
	;; [unrolled: 1-line block ×5, first 2 shown]
	ds_read_b64 v[52:53], v18
	ds_read_b64 v[60:61], v17 offset:16720
.LBB0_12:
	s_or_b32 exec_lo, exec_lo, s7
	v_mul_u32_u24_e32 v17, 6, v94
	v_and_b32_e32 v0, 15, v51
	s_load_dwordx2 s[4:5], s[4:5], 0x8
	v_or_b32_e32 v98, 16, v94
	v_or_b32_e32 v100, 32, v94
	v_lshlrev_b32_e32 v17, 3, v17
	v_mul_u32_u24_e32 v18, 6, v0
	v_mul_lo_u32 v70, v49, v94
	v_mul_lo_u32 v71, v49, v98
	v_mul_lo_u32 v72, v49, v100
	global_load_dwordx4 v[45:48], v17, s[18:19] offset:96
	v_lshlrev_b32_e32 v29, 3, v18
	v_or_b32_e32 v99, 48, v94
	v_or_b32_e32 v102, 64, v94
	;; [unrolled: 1-line block ×3, first 2 shown]
	s_clause 0x3
	global_load_dwordx4 v[41:44], v29, s[18:19] offset:96
	global_load_dwordx4 v[25:28], v17, s[18:19] offset:112
	;; [unrolled: 1-line block ×4, first 2 shown]
	v_bfe_u32 v73, v70, 8, 8
	v_bfe_u32 v74, v71, 8, 8
	;; [unrolled: 1-line block ×3, first 2 shown]
	v_or_b32_e32 v103, 0x60, v94
	v_lshlrev_b32_sdwa v70, v97, v70 dst_sel:DWORD dst_unused:UNUSED_PAD src0_sel:DWORD src1_sel:BYTE_0
	v_mul_lo_u32 v82, v49, v99
	v_lshl_or_b32 v73, v73, 3, 0x800
	v_lshlrev_b32_sdwa v71, v97, v71 dst_sel:DWORD dst_unused:UNUSED_PAD src0_sel:DWORD src1_sel:BYTE_0
	v_lshl_or_b32 v78, v74, 3, 0x800
	v_mul_lo_u32 v83, v49, v102
	v_or_b32_e32 v85, 16, v0
	v_lshlrev_b32_sdwa v72, v97, v72 dst_sel:DWORD dst_unused:UNUSED_PAD src0_sel:DWORD src1_sel:BYTE_0
	v_lshl_or_b32 v87, v75, 3, 0x800
	global_load_dwordx4 v[29:32], v29, s[18:19] offset:128
	v_mul_lo_u32 v84, v49, v101
	s_waitcnt lgkmcnt(0)
	s_clause 0x5
	global_load_dwordx2 v[76:77], v70, s[4:5]
	global_load_dwordx2 v[80:81], v73, s[4:5]
	;; [unrolled: 1-line block ×6, first 2 shown]
	v_mul_lo_u32 v87, v49, v103
	v_mul_lo_u32 v88, v49, v0
	v_or_b32_e32 v86, 32, v0
	v_or_b32_e32 v90, 48, v0
	v_mul_lo_u32 v112, v49, v85
	v_bfe_u32 v85, v82, 8, 8
	v_lshlrev_b32_sdwa v82, v97, v82 dst_sel:DWORD dst_unused:UNUSED_PAD src0_sel:DWORD src1_sel:BYTE_0
	v_mul_lo_u32 v113, v49, v86
	v_bfe_u32 v86, v83, 8, 8
	v_bfe_u32 v89, v84, 8, 8
	;; [unrolled: 1-line block ×3, first 2 shown]
	v_lshlrev_b32_sdwa v92, v97, v87 dst_sel:DWORD dst_unused:UNUSED_PAD src0_sel:DWORD src1_sel:BYTE_0
	v_bfe_u32 v87, v88, 8, 8
	v_lshl_or_b32 v85, v85, 3, 0x800
	v_mul_lo_u32 v115, v49, v90
	v_lshlrev_b32_sdwa v83, v97, v83 dst_sel:DWORD dst_unused:UNUSED_PAD src0_sel:DWORD src1_sel:BYTE_0
	v_lshlrev_b32_sdwa v84, v97, v84 dst_sel:DWORD dst_unused:UNUSED_PAD src0_sel:DWORD src1_sel:BYTE_0
	v_lshl_or_b32 v86, v86, 3, 0x800
	v_lshlrev_b32_sdwa v93, v97, v88 dst_sel:DWORD dst_unused:UNUSED_PAD src0_sel:DWORD src1_sel:BYTE_0
	s_clause 0x1
	global_load_dwordx2 v[104:105], v82, s[4:5]
	global_load_dwordx2 v[106:107], v85, s[4:5]
	v_lshl_or_b32 v85, v89, 3, 0x800
	v_lshl_or_b32 v114, v87, 3, 0x800
	;; [unrolled: 1-line block ×3, first 2 shown]
	s_clause 0x7
	global_load_dwordx2 v[108:109], v83, s[4:5]
	global_load_dwordx2 v[110:111], v86, s[4:5]
	;; [unrolled: 1-line block ×8, first 2 shown]
	v_bfe_u32 v114, v112, 8, 8
	v_bfe_u32 v117, v115, 8, 8
	;; [unrolled: 1-line block ×3, first 2 shown]
	v_lshlrev_b32_sdwa v112, v97, v112 dst_sel:DWORD dst_unused:UNUSED_PAD src0_sel:DWORD src1_sel:BYTE_0
	v_lshlrev_b32_sdwa v115, v97, v115 dst_sel:DWORD dst_unused:UNUSED_PAD src0_sel:DWORD src1_sel:BYTE_0
	v_lshl_or_b32 v114, v114, 3, 0x800
	v_lshlrev_b32_sdwa v113, v97, v113 dst_sel:DWORD dst_unused:UNUSED_PAD src0_sel:DWORD src1_sel:BYTE_0
	v_lshl_or_b32 v116, v116, 3, 0x800
	s_andn2_b32 vcc_lo, exec_lo, s1
	s_waitcnt vmcnt(21)
	v_mul_f32_e32 v118, v46, v38
	v_mul_f32_e32 v122, v46, v37
	;; [unrolled: 1-line block ×4, first 2 shown]
	s_waitcnt vmcnt(20)
	v_mul_f32_e32 v124, v42, v39
	v_fma_f32 v123, v45, v37, -v118
	v_fmac_f32_e32 v122, v45, v38
	v_fma_f32 v45, v47, v33, -v46
	v_fmac_f32_e32 v48, v47, v34
	v_mul_f32_e32 v33, v42, v40
	v_mul_f32_e32 v47, v44, v36
	;; [unrolled: 1-line block ×3, first 2 shown]
	v_lshl_or_b32 v46, v117, 3, 0x800
	v_fmac_f32_e32 v124, v41, v40
	v_fma_f32 v126, v41, v39, -v33
	s_clause 0x3
	global_load_dwordx2 v[33:34], v112, s[4:5]
	global_load_dwordx2 v[37:38], v114, s[4:5]
	;; [unrolled: 1-line block ×4, first 2 shown]
	v_fma_f32 v127, v43, v35, -v47
	v_fmac_f32_e32 v125, v43, v36
	s_clause 0x1
	global_load_dwordx2 v[35:36], v115, s[4:5]
	global_load_dwordx2 v[43:44], v46, s[4:5]
	s_waitcnt vmcnt(25)
	v_mul_f32_e32 v112, v28, v10
	v_mul_f32_e32 v28, v28, v9
	;; [unrolled: 1-line block ×4, first 2 shown]
	v_and_b32_e32 v46, 15, v96
	v_or_b32_e32 v113, 64, v0
	v_fmac_f32_e32 v28, v27, v10
	s_waitcnt vmcnt(24)
	v_mul_f32_e32 v10, v16, v22
	v_mul_f32_e32 v22, v15, v22
	v_fmac_f32_e32 v26, v25, v14
	v_mul_f32_e32 v14, v12, v24
	v_fma_f32 v128, v25, v13, -v47
	v_fma_f32 v10, v15, v21, -v10
	v_fmac_f32_e32 v22, v16, v21
	v_mul_f32_e32 v21, v11, v24
	v_or_b32_e32 v13, 0x50, v0
	v_or_b32_e32 v0, 0x60, v0
	v_fma_f32 v9, v27, v9, -v112
	v_mul_u32_u24_e32 v15, 6, v46
	v_or_b32_e32 v16, 16, v46
	v_mul_lo_u32 v24, v49, v46
	v_fma_f32 v11, v11, v23, -v14
	v_fmac_f32_e32 v21, v12, v23
	v_or_b32_e32 v12, 32, v46
	v_or_b32_e32 v14, 48, v46
	;; [unrolled: 1-line block ×5, first 2 shown]
	v_mul_lo_u32 v46, v49, v113
	s_waitcnt vmcnt(23)
	v_mul_f32_e32 v131, v18, v5
	v_mul_lo_u32 v0, v49, v0
	v_mul_lo_u32 v13, v49, v13
	v_lshlrev_b32_e32 v129, 3, v15
	v_mul_lo_u32 v15, v49, v16
	v_mul_lo_u32 v130, v49, v12
	v_mul_f32_e32 v12, v18, v6
	v_mul_f32_e32 v16, v20, v2
	;; [unrolled: 1-line block ×3, first 2 shown]
	v_fmac_f32_e32 v131, v17, v6
	s_waitcnt vmcnt(22)
	v_mul_f32_e32 v6, v8, v30
	v_mul_f32_e32 v30, v7, v30
	v_mul_lo_u32 v132, v49, v14
	v_bfe_u32 v14, v46, 8, 8
	v_fma_f32 v5, v17, v5, -v12
	v_fmac_f32_e32 v20, v19, v2
	v_bfe_u32 v2, v24, 8, 8
	v_lshlrev_b32_sdwa v12, v97, v24 dst_sel:DWORD dst_unused:UNUSED_PAD src0_sel:DWORD src1_sel:BYTE_0
	v_mul_f32_e32 v24, v3, v32
	v_fma_f32 v1, v19, v1, -v16
	v_lshlrev_b32_sdwa v16, v97, v46 dst_sel:DWORD dst_unused:UNUSED_PAD src0_sel:DWORD src1_sel:BYTE_0
	v_fmac_f32_e32 v30, v8, v29
	v_mul_f32_e32 v8, v4, v32
	v_bfe_u32 v17, v0, 8, 8
	v_fma_f32 v6, v7, v29, -v6
	v_lshlrev_b32_sdwa v7, v97, v13 dst_sel:DWORD dst_unused:UNUSED_PAD src0_sel:DWORD src1_sel:BYTE_0
	v_bfe_u32 v13, v13, 8, 8
	v_lshl_or_b32 v14, v14, 3, 0x800
	v_fmac_f32_e32 v24, v4, v31
	v_bfe_u32 v4, v15, 8, 8
	v_fma_f32 v3, v3, v31, -v8
	v_lshlrev_b32_sdwa v8, v97, v15 dst_sel:DWORD dst_unused:UNUSED_PAD src0_sel:DWORD src1_sel:BYTE_0
	v_lshl_or_b32 v15, v17, 3, 0x800
	s_clause 0x1
	global_load_dwordx2 v[46:47], v16, s[4:5]
	global_load_dwordx2 v[112:113], v14, s[4:5]
	s_waitcnt vmcnt(22)
	v_mul_f32_e32 v14, v77, v81
	s_waitcnt vmcnt(20)
	v_mul_f32_e32 v16, v75, v79
	;; [unrolled: 2-line block ×3, first 2 shown]
	v_lshl_or_b32 v2, v2, 3, 0x800
	v_lshl_or_b32 v13, v13, 3, 0x800
	v_lshlrev_b32_sdwa v0, v97, v0 dst_sel:DWORD dst_unused:UNUSED_PAD src0_sel:DWORD src1_sel:BYTE_0
	v_lshl_or_b32 v4, v4, 3, 0x800
	v_mul_f32_e32 v29, v76, v81
	v_mul_f32_e32 v31, v74, v79
	v_fma_f32 v32, v76, v80, -v14
	v_fma_f32 v74, v74, v78, -v16
	s_clause 0x3
	global_load_dwordx2 v[114:115], v7, s[4:5]
	global_load_dwordx2 v[116:117], v13, s[4:5]
	;; [unrolled: 1-line block ×4, first 2 shown]
	v_fma_f32 v0, v70, v72, -v17
	s_clause 0x3
	global_load_dwordx2 v[16:17], v12, s[4:5]
	global_load_dwordx2 v[18:19], v2, s[4:5]
	;; [unrolled: 1-line block ×4, first 2 shown]
	v_add_f32_e32 v2, v128, v9
	v_sub_f32_e32 v4, v9, v128
	v_add_f32_e32 v9, v26, v28
	v_sub_f32_e32 v26, v28, v26
	s_waitcnt vmcnt(22)
	v_mul_f32_e32 v28, v109, v111
	v_fmac_f32_e32 v29, v77, v80
	v_mul_f32_e32 v73, v70, v73
	v_fmac_f32_e32 v31, v75, v78
	v_mul_f32_e32 v7, v105, v107
	v_mul_f32_e32 v8, v104, v107
	s_waitcnt vmcnt(18)
	v_mul_f32_e32 v75, v85, v89
	v_fma_f32 v78, v108, v110, -v28
	v_mul_f32_e32 v80, v84, v89
	s_waitcnt vmcnt(16)
	v_mul_f32_e32 v28, v91, v93
	v_mul_f32_e32 v76, v90, v93
	v_add_f32_e32 v77, v123, v1
	v_add_f32_e32 v79, v122, v20
	;; [unrolled: 1-line block ×3, first 2 shown]
	v_sub_f32_e32 v5, v45, v5
	v_add_f32_e32 v45, v48, v131
	v_fmac_f32_e32 v73, v71, v72
	v_fma_f32 v7, v104, v106, -v7
	v_fmac_f32_e32 v8, v105, v106
	v_mul_f32_e32 v71, v83, v87
	v_mul_f32_e32 v72, v82, v87
	v_sub_f32_e32 v1, v123, v1
	v_sub_f32_e32 v20, v122, v20
	;; [unrolled: 1-line block ×3, first 2 shown]
	v_add_f32_e32 v87, v126, v3
	v_sub_f32_e32 v3, v126, v3
	v_add_f32_e32 v89, v124, v24
	v_add_f32_e32 v93, v127, v6
	v_sub_f32_e32 v6, v127, v6
	v_add_f32_e32 v104, v125, v30
	;; [unrolled: 3-line block ×3, first 2 shown]
	v_sub_f32_e32 v21, v21, v22
	v_fma_f32 v106, v84, v88, -v75
	v_fmac_f32_e32 v80, v85, v88
	v_fma_f32 v22, v90, v92, -v28
	v_fmac_f32_e32 v76, v91, v92
	v_add_f32_e32 v75, v81, v77
	v_sub_f32_e32 v30, v125, v30
	v_fma_f32 v71, v82, v86, -v71
	v_fmac_f32_e32 v72, v83, v86
	v_sub_f32_e32 v82, v77, v2
	v_sub_f32_e32 v83, v2, v81
	;; [unrolled: 1-line block ×4, first 2 shown]
	v_add_f32_e32 v86, v4, v5
	v_add_f32_e32 v2, v2, v75
	v_mul_f32_e32 v70, v108, v111
	v_sub_f32_e32 v24, v124, v24
	v_mul_f32_e32 v75, 0x3d64c772, v83
	v_add_f32_e32 v68, v2, v68
	v_fmac_f32_e32 v70, v109, v110
	v_fmamk_f32 v2, v2, 0xbf955555, v68
	s_waitcnt vmcnt(14)
	v_mul_f32_e32 v28, v34, v38
	v_mul_f32_e32 v88, v33, v38
	s_waitcnt vmcnt(12)
	v_mul_f32_e32 v38, v40, v42
	v_mul_f32_e32 v90, v39, v42
	;; [unrolled: 3-line block ×3, first 2 shown]
	v_add_f32_e32 v44, v45, v79
	v_fma_f32 v92, v33, v37, -v28
	v_fmac_f32_e32 v88, v34, v37
	v_sub_f32_e32 v28, v4, v5
	v_add_f32_e32 v33, v26, v48
	v_sub_f32_e32 v34, v26, v48
	v_sub_f32_e32 v5, v5, v1
	;; [unrolled: 1-line block ×5, first 2 shown]
	v_add_f32_e32 v77, v93, v87
	v_sub_f32_e32 v79, v93, v87
	v_sub_f32_e32 v81, v87, v105
	;; [unrolled: 1-line block ×3, first 2 shown]
	v_add_f32_e32 v93, v104, v89
	v_fma_f32 v107, v39, v41, -v38
	v_fmac_f32_e32 v90, v40, v41
	v_sub_f32_e32 v38, v104, v89
	v_sub_f32_e32 v39, v89, v11
	v_add_f32_e32 v41, v10, v6
	v_sub_f32_e32 v89, v10, v6
	v_sub_f32_e32 v6, v6, v3
	v_add_f32_e32 v9, v9, v44
	v_sub_f32_e32 v4, v1, v4
	v_sub_f32_e32 v26, v20, v26
	;; [unrolled: 1-line block ×4, first 2 shown]
	v_add_f32_e32 v104, v21, v30
	v_fma_f32 v108, v35, v43, -v42
	v_fmac_f32_e32 v91, v36, v43
	v_add_f32_e32 v1, v86, v1
	v_mul_f32_e32 v28, 0xbf08b237, v28
	v_add_f32_e32 v20, v33, v20
	v_mul_f32_e32 v33, 0x3f4a47b2, v82
	v_mul_f32_e32 v36, 0x3f4a47b2, v84
	v_mul_f32_e32 v34, 0xbf08b237, v34
	v_mul_f32_e32 v42, 0x3f5ff5aa, v5
	v_mul_f32_e32 v43, 0x3f5ff5aa, v48
	v_mul_f32_e32 v44, 0x3d64c772, v85
	v_add_f32_e32 v77, v105, v77
	v_add_f32_e32 v11, v11, v93
	v_mul_f32_e32 v84, 0xbf08b237, v89
	v_mul_f32_e32 v86, 0x3f5ff5aa, v6
	v_add_f32_e32 v69, v9, v69
	v_sub_f32_e32 v35, v21, v30
	v_sub_f32_e32 v21, v24, v21
	;; [unrolled: 1-line block ×3, first 2 shown]
	v_add_f32_e32 v3, v41, v3
	v_add_f32_e32 v24, v104, v24
	v_mul_f32_e32 v82, 0x3d64c772, v40
	v_fmamk_f32 v93, v4, 0x3eae86e6, v28
	v_fmamk_f32 v104, v26, 0x3eae86e6, v34
	;; [unrolled: 1-line block ×4, first 2 shown]
	v_fma_f32 v4, 0xbeae86e6, v4, -v42
	v_fma_f32 v26, 0xbeae86e6, v26, -v43
	;; [unrolled: 1-line block ×8, first 2 shown]
	v_add_f32_e32 v37, v77, v66
	v_add_f32_e32 v44, v11, v67
	v_fma_f32 v109, 0x3f5ff5aa, v6, -v84
	v_fmamk_f32 v110, v10, 0x3eae86e6, v84
	v_fma_f32 v111, 0xbeae86e6, v10, -v86
	v_mul_f32_e32 v6, v69, v29
	v_mul_f32_e32 v83, v68, v29
	v_fmamk_f32 v9, v9, 0xbf955555, v69
	v_mul_f32_e32 v41, 0x3f4a47b2, v81
	v_mul_f32_e32 v81, 0x3d64c772, v87
	v_fma_f32 v66, 0x3f3bfb3b, v38, -v82
	v_fmac_f32_e32 v93, 0x3ee1c552, v1
	v_fmac_f32_e32 v104, 0x3ee1c552, v20
	;; [unrolled: 1-line block ×5, first 2 shown]
	v_mul_f32_e32 v1, v44, v76
	v_mul_f32_e32 v43, v37, v76
	v_fmac_f32_e32 v110, 0x3ee1c552, v3
	v_fmac_f32_e32 v109, 0x3ee1c552, v3
	;; [unrolled: 1-line block ×3, first 2 shown]
	v_fma_f32 v82, v68, v32, -v6
	v_fmac_f32_e32 v83, v69, v32
	v_add_f32_e32 v68, v85, v9
	v_add_f32_e32 v69, v105, v2
	;; [unrolled: 1-line block ×5, first 2 shown]
	v_fma_f32 v48, 0x3f3bfb3b, v79, -v81
	v_fmac_f32_e32 v28, 0x3ee1c552, v20
	v_fmamk_f32 v81, v11, 0xbf955555, v44
	v_add_f32_e32 v2, v34, v2
	v_fma_f32 v42, v37, v22, -v1
	v_fmac_f32_e32 v43, v44, v22
	v_sub_f32_e32 v1, v68, v93
	v_add_f32_e32 v10, v104, v69
	v_sub_f32_e32 v11, v3, v4
	v_add_f32_e32 v20, v26, v6
	v_sub_f32_e32 v44, v9, v5
	v_mul_f32_e32 v35, 0xbf08b237, v35
	v_mul_f32_e32 v89, 0x3f5ff5aa, v30
	v_fmamk_f32 v45, v87, 0x3d64c772, v41
	v_sub_f32_e32 v22, v2, v28
	v_add_f32_e32 v2, v28, v2
	v_sub_f32_e32 v105, v6, v26
	v_add_f32_e32 v124, v4, v3
	v_mul_f32_e32 v3, v1, v31
	v_mul_f32_e32 v87, v10, v31
	v_mul_f32_e32 v4, v11, v73
	v_mul_f32_e32 v85, v20, v73
	v_mul_f32_e32 v6, v44, v70
	v_fmamk_f32 v123, v21, 0x3eae86e6, v35
	v_fma_f32 v89, 0xbeae86e6, v21, -v89
	v_add_f32_e32 v21, v5, v9
	v_mul_f32_e32 v75, v2, v70
	v_fma_f32 v86, v10, v74, -v3
	v_fmac_f32_e32 v87, v1, v74
	v_fma_f32 v84, v20, v0, -v4
	v_fmac_f32_e32 v85, v11, v0
	v_fma_f32 v74, v2, v78, -v6
	v_mul_lo_u32 v0, v49, v23
	v_mul_lo_u32 v2, v49, v25
	;; [unrolled: 1-line block ×3, first 2 shown]
	v_fma_f32 v41, 0xbf3bfb3b, v79, -v41
	v_fmamk_f32 v79, v77, 0xbf955555, v37
	v_mul_f32_e32 v5, v21, v8
	v_mul_f32_e32 v77, v22, v8
	v_bfe_u32 v1, v130, 8, 8
	v_bfe_u32 v3, v132, 8, 8
	;; [unrolled: 1-line block ×3, first 2 shown]
	v_fma_f32 v76, v22, v7, -v5
	v_fmac_f32_e32 v77, v21, v7
	v_bfe_u32 v7, v0, 8, 8
	v_bfe_u32 v9, v4, 8, 8
	v_mul_f32_e32 v39, 0x3f4a47b2, v39
	v_fma_f32 v122, 0x3f5ff5aa, v30, -v35
	v_lshlrev_b32_sdwa v5, v97, v130 dst_sel:DWORD dst_unused:UNUSED_PAD src0_sel:DWORD src1_sel:BYTE_0
	v_lshl_or_b32 v1, v1, 3, 0x800
	v_lshlrev_b32_sdwa v6, v97, v132 dst_sel:DWORD dst_unused:UNUSED_PAD src0_sel:DWORD src1_sel:BYTE_0
	v_lshl_or_b32 v3, v3, 3, 0x800
	;; [unrolled: 2-line block ×5, first 2 shown]
	v_fmamk_f32 v40, v40, 0x3d64c772, v39
	v_fma_f32 v67, 0xbf3bfb3b, v38, -v39
	v_fmac_f32_e32 v123, 0x3ee1c552, v24
	v_fmac_f32_e32 v122, 0x3ee1c552, v24
	;; [unrolled: 1-line block ×3, first 2 shown]
	s_clause 0x9
	global_load_dwordx2 v[36:37], v5, s[4:5]
	global_load_dwordx2 v[38:39], v1, s[4:5]
	;; [unrolled: 1-line block ×10, first 2 shown]
	s_clause 0x2
	global_load_dwordx4 v[0:3], v129, s[18:19] offset:128
	global_load_dwordx4 v[4:7], v129, s[18:19] offset:112
	;; [unrolled: 1-line block ×3, first 2 shown]
	v_add_f32_e32 v68, v93, v68
	v_add_f32_e32 v70, v45, v79
	;; [unrolled: 1-line block ×4, first 2 shown]
	v_mul_f32_e32 v48, v124, v72
	v_sub_f32_e32 v69, v69, v104
	v_add_f32_e32 v41, v41, v79
	v_add_f32_e32 v67, v67, v81
	v_mul_f32_e32 v79, v105, v72
	v_fmac_f32_e32 v75, v44, v78
	v_fma_f32 v78, v105, v71, -v48
	v_mul_f32_e32 v44, v68, v80
	v_sub_f32_e32 v48, v40, v110
	v_add_f32_e32 v66, v66, v81
	v_fmac_f32_e32 v79, v124, v71
	v_mul_f32_e32 v81, v69, v80
	v_add_f32_e32 v71, v123, v70
	v_fma_f32 v80, v69, v106, -v44
	v_sub_f32_e32 v44, v67, v111
	v_mul_f32_e32 v69, v48, v88
	v_fmac_f32_e32 v81, v68, v106
	v_add_f32_e32 v68, v89, v41
	v_mul_f32_e32 v73, v71, v88
	v_add_f32_e32 v88, v109, v66
	v_fma_f32 v72, v71, v92, -v69
	v_mul_f32_e32 v71, v44, v90
	v_mul_f32_e32 v69, v68, v90
	v_sub_f32_e32 v66, v66, v109
	v_sub_f32_e32 v41, v41, v89
	s_waitcnt vmcnt(21)
	v_mul_f32_e32 v89, v47, v113
	v_fma_f32 v68, v68, v107, -v71
	v_mul_f32_e32 v71, v46, v113
	v_sub_f32_e32 v90, v45, v122
	v_mul_f32_e32 v93, v88, v91
	v_fmac_f32_e32 v73, v48, v92
	v_add_f32_e32 v48, v122, v45
	v_fmac_f32_e32 v71, v47, v112
	v_fma_f32 v46, v46, v112, -v89
	v_fmac_f32_e32 v69, v44, v107
	v_fma_f32 v44, v90, v108, -v93
	v_mul_f32_e32 v45, v90, v91
	v_mul_f32_e32 v47, v66, v71
	v_add_f32_e32 v90, v111, v67
	v_sub_f32_e32 v91, v70, v123
	s_waitcnt vmcnt(19)
	v_mul_f32_e32 v67, v114, v117
	v_mul_f32_e32 v71, v48, v71
	v_fma_f32 v70, v48, v46, -v47
	s_waitcnt vmcnt(17)
	v_mul_f32_e32 v48, v118, v121
	v_add_f32_e32 v40, v110, v40
	v_fmac_f32_e32 v45, v88, v108
	v_mul_f32_e32 v88, v115, v117
	v_fmac_f32_e32 v67, v115, v116
	v_fmac_f32_e32 v71, v66, v46
	v_mul_f32_e32 v46, v119, v121
	v_fmac_f32_e32 v48, v119, v120
	v_fma_f32 v66, v114, v116, -v88
	v_mul_f32_e32 v88, v90, v67
	v_mul_f32_e32 v47, v41, v67
	v_fma_f32 v89, v118, v120, -v46
	v_mul_f32_e32 v92, v40, v48
	v_mul_f32_e32 v67, v91, v48
	v_fma_f32 v46, v41, v66, -v88
	v_fmac_f32_e32 v47, v90, v66
	v_fma_f32 v66, v91, v89, -v92
	v_fmac_f32_e32 v67, v40, v89
	s_cbranch_vccnz .LBB0_14
; %bb.13:
	v_mad_u64_u32 v[40:41], null, s8, v95, 0
	v_mad_u64_u32 v[88:89], null, s12, v94, 0
	;; [unrolled: 1-line block ×5, first 2 shown]
	v_mov_b32_e32 v48, v89
	s_lshl_b64 s[4:5], s[2:3], 3
	v_mov_b32_e32 v89, v91
	s_add_u32 s1, s16, s4
	s_addc_u32 s4, s17, s5
	v_mad_u64_u32 v[106:107], null, s13, v94, v[48:49]
	v_mov_b32_e32 v41, v92
	v_mad_u64_u32 v[91:92], null, s13, v98, v[89:90]
	v_mov_b32_e32 v48, v105
	;; [unrolled: 2-line block ×3, first 2 shown]
	v_lshlrev_b64 v[40:41], 3, v[40:41]
	v_mad_u64_u32 v[92:93], null, s13, v100, v[48:49]
	v_lshlrev_b64 v[90:91], 3, v[90:91]
	v_lshlrev_b64 v[88:89], 3, v[88:89]
	v_mov_b32_e32 v48, v108
	v_add_co_u32 v40, vcc_lo, s1, v40
	v_add_co_ci_u32_e32 v41, vcc_lo, s4, v41, vcc_lo
	v_mov_b32_e32 v105, v92
	v_add_co_u32 v88, vcc_lo, v40, v88
	v_add_co_ci_u32_e32 v89, vcc_lo, v41, v89, vcc_lo
	v_lshlrev_b64 v[92:93], 3, v[104:105]
	v_add_co_u32 v90, vcc_lo, v40, v90
	global_store_dwordx2 v[88:89], v[82:83], off
	v_mad_u64_u32 v[88:89], null, s12, v102, 0
	v_add_co_ci_u32_e32 v91, vcc_lo, v41, v91, vcc_lo
	v_mad_u64_u32 v[104:105], null, s13, v99, v[48:49]
	v_add_co_u32 v92, vcc_lo, v40, v92
	v_mov_b32_e32 v48, v89
	v_mad_u64_u32 v[109:110], null, s12, v101, 0
	v_add_co_ci_u32_e32 v93, vcc_lo, v41, v93, vcc_lo
	v_mad_u64_u32 v[105:106], null, s13, v102, v[48:49]
	global_store_dwordx2 v[90:91], v[86:87], off
	global_store_dwordx2 v[92:93], v[84:85], off
	v_mad_u64_u32 v[92:93], null, s12, v103, 0
	v_mov_b32_e32 v48, v110
	v_mov_b32_e32 v108, v104
	;; [unrolled: 1-line block ×3, first 2 shown]
	s_and_b32 s6, s0, exec_lo
	v_mad_u64_u32 v[104:105], null, s13, v101, v[48:49]
	v_mov_b32_e32 v48, v93
	v_lshlrev_b64 v[90:91], 3, v[107:108]
	v_lshrrev_b32_e32 v93, 4, v51
	v_lshlrev_b64 v[88:89], 3, v[88:89]
	v_mad_u64_u32 v[105:106], null, s13, v103, v[48:49]
	v_mad_u64_u32 v[106:107], null, 0x60, v93, v[51:52]
	v_add_co_u32 v90, vcc_lo, v40, v90
	v_add_co_ci_u32_e32 v91, vcc_lo, v41, v91, vcc_lo
	v_add_co_u32 v88, vcc_lo, v40, v88
	v_add_co_ci_u32_e32 v89, vcc_lo, v41, v89, vcc_lo
	v_mov_b32_e32 v110, v104
	v_add_nc_u32_e32 v97, 16, v106
	global_store_dwordx2 v[90:91], v[76:77], off
	global_store_dwordx2 v[88:89], v[74:75], off
	v_mov_b32_e32 v93, v105
	v_mad_u64_u32 v[90:91], null, s12, v106, 0
	v_lshlrev_b64 v[88:89], 3, v[109:110]
	v_mad_u64_u32 v[104:105], null, s12, v97, 0
	v_lshlrev_b64 v[92:93], 3, v[92:93]
	v_add_nc_u32_e32 v112, 32, v106
	v_add_co_u32 v88, vcc_lo, v40, v88
	v_mov_b32_e32 v48, v91
	v_add_co_ci_u32_e32 v89, vcc_lo, v41, v89, vcc_lo
	v_add_co_u32 v92, vcc_lo, v40, v92
	v_mov_b32_e32 v91, v105
	v_mad_u64_u32 v[107:108], null, s13, v106, v[48:49]
	v_mad_u64_u32 v[108:109], null, s12, v112, 0
	;; [unrolled: 1-line block ×3, first 2 shown]
	v_add_co_ci_u32_e32 v93, vcc_lo, v41, v93, vcc_lo
	v_mov_b32_e32 v91, v107
	global_store_dwordx2 v[88:89], v[78:79], off
	v_mov_b32_e32 v48, v109
	global_store_dwordx2 v[92:93], v[80:81], off
	v_mov_b32_e32 v105, v110
	v_lshlrev_b64 v[88:89], 3, v[90:91]
	v_add_nc_u32_e32 v93, 48, v106
	v_mad_u64_u32 v[90:91], null, s13, v112, v[48:49]
	v_lshlrev_b64 v[91:92], 3, v[104:105]
	v_add_nc_u32_e32 v97, 64, v106
	v_add_co_u32 v88, vcc_lo, v40, v88
	v_add_co_ci_u32_e32 v89, vcc_lo, v41, v89, vcc_lo
	v_mov_b32_e32 v109, v90
	v_add_co_u32 v90, vcc_lo, v40, v91
	v_mad_u64_u32 v[104:105], null, s12, v93, 0
	v_add_co_ci_u32_e32 v91, vcc_lo, v41, v92, vcc_lo
	global_store_dwordx2 v[88:89], v[42:43], off
	v_add_nc_u32_e32 v111, 0x50, v106
	v_lshlrev_b64 v[88:89], 3, v[108:109]
	global_store_dwordx2 v[90:91], v[72:73], off
	v_mad_u64_u32 v[90:91], null, s12, v97, 0
	v_mov_b32_e32 v48, v105
	v_add_co_u32 v88, vcc_lo, v40, v88
	v_add_co_ci_u32_e32 v89, vcc_lo, v41, v89, vcc_lo
	v_mad_u64_u32 v[92:93], null, s13, v93, v[48:49]
	v_mov_b32_e32 v48, v91
	v_add_nc_u32_e32 v93, 0x60, v106
	v_mad_u64_u32 v[106:107], null, s12, v111, 0
	global_store_dwordx2 v[88:89], v[68:69], off
	v_mad_u64_u32 v[108:109], null, s13, v97, v[48:49]
	v_mad_u64_u32 v[109:110], null, s12, v93, 0
	v_mov_b32_e32 v105, v92
	v_mov_b32_e32 v48, v107
	;; [unrolled: 1-line block ×3, first 2 shown]
	v_lshlrev_b64 v[88:89], 3, v[104:105]
	v_mov_b32_e32 v92, v110
	v_mad_u64_u32 v[104:105], null, s13, v111, v[48:49]
	v_lshlrev_b64 v[90:91], 3, v[90:91]
	v_mad_u64_u32 v[92:93], null, s13, v93, v[92:93]
	v_add_co_u32 v88, vcc_lo, v40, v88
	v_add_co_ci_u32_e32 v89, vcc_lo, v41, v89, vcc_lo
	v_mov_b32_e32 v107, v104
	v_add_co_u32 v90, vcc_lo, v40, v90
	v_add_co_ci_u32_e32 v91, vcc_lo, v41, v91, vcc_lo
	v_mov_b32_e32 v110, v92
	global_store_dwordx2 v[88:89], v[44:45], off
	v_lshlrev_b64 v[88:89], 3, v[106:107]
	global_store_dwordx2 v[90:91], v[70:71], off
	v_lshlrev_b64 v[90:91], 3, v[109:110]
	v_add_co_u32 v88, vcc_lo, v40, v88
	v_add_co_ci_u32_e32 v89, vcc_lo, v41, v89, vcc_lo
	v_add_co_u32 v90, vcc_lo, v40, v90
	v_add_co_ci_u32_e32 v91, vcc_lo, v41, v91, vcc_lo
	global_store_dwordx2 v[88:89], v[46:47], off
	global_store_dwordx2 v[90:91], v[66:67], off
	s_cbranch_execz .LBB0_15
	s_branch .LBB0_18
.LBB0_14:
                                        ; implicit-def: $vgpr40_vgpr41
.LBB0_15:
	s_mov_b32 s1, exec_lo
                                        ; implicit-def: $vgpr40_vgpr41
	v_cmpx_gt_u64_e64 s[14:15], v[49:50]
	s_cbranch_execz .LBB0_17
; %bb.16:
	v_mad_u64_u32 v[40:41], null, s8, v95, 0
	v_mad_u64_u32 v[48:49], null, s12, v94, 0
	v_mad_u64_u32 v[88:89], null, s12, v98, 0
	s_lshl_b64 s[2:3], s[2:3], 3
	v_mad_u64_u32 v[104:105], null, s12, v99, 0
	v_mad_u64_u32 v[90:91], null, s9, v95, v[41:42]
	;; [unrolled: 1-line block ×4, first 2 shown]
	s_add_u32 s2, s16, s2
	v_mov_b32_e32 v50, v89
	v_mov_b32_e32 v41, v90
	s_addc_u32 s3, s17, s3
	v_lshlrev_b64 v[48:49], 3, v[48:49]
	v_mov_b32_e32 v89, v92
	v_lshlrev_b64 v[40:41], 3, v[40:41]
	v_mad_u64_u32 v[92:93], null, s13, v98, v[50:51]
	v_mov_b32_e32 v50, v105
	v_mad_u64_u32 v[97:98], null, s13, v100, v[89:90]
	v_add_co_u32 v40, vcc_lo, s2, v40
	v_add_co_ci_u32_e32 v41, vcc_lo, s3, v41, vcc_lo
	v_mov_b32_e32 v89, v92
	v_add_co_u32 v48, vcc_lo, v40, v48
	v_add_co_ci_u32_e32 v49, vcc_lo, v41, v49, vcc_lo
	v_mov_b32_e32 v92, v97
	v_lshlrev_b64 v[88:89], 3, v[88:89]
	s_andn2_b32 s2, s6, exec_lo
	global_store_dwordx2 v[48:49], v[82:83], off
	v_mad_u64_u32 v[82:83], null, s12, v102, 0
	v_lshlrev_b64 v[48:49], 3, v[91:92]
	v_mad_u64_u32 v[90:91], null, s13, v99, v[50:51]
	v_add_co_u32 v88, vcc_lo, v40, v88
	v_add_co_ci_u32_e32 v89, vcc_lo, v41, v89, vcc_lo
	v_mov_b32_e32 v50, v83
	v_add_co_u32 v48, vcc_lo, v40, v48
	v_add_co_ci_u32_e32 v49, vcc_lo, v41, v49, vcc_lo
	v_mad_u64_u32 v[91:92], null, s13, v102, v[50:51]
	v_mad_u64_u32 v[92:93], null, s12, v101, 0
	global_store_dwordx2 v[88:89], v[86:87], off
	global_store_dwordx2 v[48:49], v[84:85], off
	v_mad_u64_u32 v[84:85], null, s12, v103, 0
	v_mov_b32_e32 v105, v90
	v_mov_b32_e32 v83, v91
	;; [unrolled: 1-line block ×3, first 2 shown]
	v_lshlrev_b64 v[48:49], 3, v[104:105]
	v_lshlrev_b64 v[82:83], 3, v[82:83]
	v_mad_u64_u32 v[86:87], null, s13, v101, v[50:51]
	v_mov_b32_e32 v50, v85
	v_lshrrev_b32_e32 v85, 4, v51
	v_add_co_u32 v48, vcc_lo, v40, v48
	v_add_co_ci_u32_e32 v49, vcc_lo, v41, v49, vcc_lo
	v_mad_u64_u32 v[87:88], null, s13, v103, v[50:51]
	v_mad_u64_u32 v[50:51], null, 0x60, v85, v[51:52]
	v_add_co_u32 v82, vcc_lo, v40, v82
	v_add_co_ci_u32_e32 v83, vcc_lo, v41, v83, vcc_lo
	v_mov_b32_e32 v93, v86
	global_store_dwordx2 v[48:49], v[76:77], off
	global_store_dwordx2 v[82:83], v[74:75], off
	v_add_nc_u32_e32 v86, 16, v50
	v_mov_b32_e32 v85, v87
	v_mad_u64_u32 v[74:75], null, s12, v50, 0
	v_lshlrev_b64 v[48:49], 3, v[92:93]
	v_mad_u64_u32 v[82:83], null, s12, v86, 0
	v_lshlrev_b64 v[76:77], 3, v[84:85]
	v_add_nc_u32_e32 v88, 32, v50
	v_add_co_u32 v48, vcc_lo, v40, v48
	v_mov_b32_e32 v51, v75
	v_add_co_ci_u32_e32 v49, vcc_lo, v41, v49, vcc_lo
	v_add_co_u32 v76, vcc_lo, v40, v76
	v_mov_b32_e32 v75, v83
	v_mad_u64_u32 v[83:84], null, s13, v50, v[51:52]
	v_mad_u64_u32 v[84:85], null, s12, v88, 0
	;; [unrolled: 1-line block ×3, first 2 shown]
	v_add_co_ci_u32_e32 v77, vcc_lo, v41, v77, vcc_lo
	v_mov_b32_e32 v75, v83
	global_store_dwordx2 v[48:49], v[78:79], off
	v_mov_b32_e32 v48, v85
	global_store_dwordx2 v[76:77], v[80:81], off
	v_mov_b32_e32 v83, v86
	v_lshlrev_b64 v[74:75], 3, v[74:75]
                                        ; kill: def $vgpr49 killed $sgpr0 killed $exec
	v_add_nc_u32_e32 v51, 48, v50
	v_mad_u64_u32 v[48:49], null, s13, v88, v[48:49]
	v_lshlrev_b64 v[76:77], 3, v[82:83]
	v_add_nc_u32_e32 v78, 64, v50
	v_add_co_u32 v74, vcc_lo, v40, v74
	v_add_co_ci_u32_e32 v75, vcc_lo, v41, v75, vcc_lo
	v_add_co_u32 v76, vcc_lo, v40, v76
	v_add_co_ci_u32_e32 v77, vcc_lo, v41, v77, vcc_lo
	v_mov_b32_e32 v85, v48
	v_mad_u64_u32 v[48:49], null, s12, v51, 0
	global_store_dwordx2 v[74:75], v[42:43], off
	global_store_dwordx2 v[76:77], v[72:73], off
	v_mad_u64_u32 v[72:73], null, s12, v78, 0
	v_add_nc_u32_e32 v79, 0x50, v50
	v_add_nc_u32_e32 v80, 0x60, v50
	v_mad_u64_u32 v[74:75], null, s13, v51, v[49:50]
	v_lshlrev_b64 v[42:43], 3, v[84:85]
	v_mad_u64_u32 v[50:51], null, s12, v79, 0
	v_mov_b32_e32 v49, v73
	s_and_b32 s0, s0, exec_lo
	v_add_co_u32 v42, vcc_lo, v40, v42
	v_add_co_ci_u32_e32 v43, vcc_lo, v41, v43, vcc_lo
	v_mad_u64_u32 v[75:76], null, s13, v78, v[49:50]
	v_mad_u64_u32 v[76:77], null, s12, v80, 0
	global_store_dwordx2 v[42:43], v[68:69], off
	v_mov_b32_e32 v42, v51
	v_mov_b32_e32 v49, v74
	s_or_b32 s6, s2, s0
	v_mov_b32_e32 v73, v75
	v_mov_b32_e32 v43, v77
	v_lshlrev_b64 v[48:49], 3, v[48:49]
	v_lshlrev_b64 v[72:73], 3, v[72:73]
	v_mad_u64_u32 v[68:69], null, s13, v79, v[42:43]
	v_mad_u64_u32 v[42:43], null, s13, v80, v[43:44]
	v_add_co_u32 v48, vcc_lo, v40, v48
	v_add_co_ci_u32_e32 v49, vcc_lo, v41, v49, vcc_lo
	v_mov_b32_e32 v51, v68
	v_add_co_u32 v68, vcc_lo, v40, v72
	v_mov_b32_e32 v77, v42
	global_store_dwordx2 v[48:49], v[44:45], off
	v_lshlrev_b64 v[42:43], 3, v[50:51]
	v_add_co_ci_u32_e32 v69, vcc_lo, v41, v73, vcc_lo
	v_lshlrev_b64 v[44:45], 3, v[76:77]
	v_add_co_u32 v42, vcc_lo, v40, v42
	v_add_co_ci_u32_e32 v43, vcc_lo, v41, v43, vcc_lo
	v_add_co_u32 v44, vcc_lo, v40, v44
	v_add_co_ci_u32_e32 v45, vcc_lo, v41, v45, vcc_lo
	global_store_dwordx2 v[68:69], v[70:71], off
	global_store_dwordx2 v[42:43], v[46:47], off
	;; [unrolled: 1-line block ×3, first 2 shown]
.LBB0_17:
	s_or_b32 exec_lo, exec_lo, s1
.LBB0_18:
	s_and_saveexec_b32 s0, s6
	s_cbranch_execnz .LBB0_20
; %bb.19:
	s_endpgm
.LBB0_20:
	s_waitcnt vmcnt(0)
	v_mul_f32_e32 v42, v55, v9
	v_mul_f32_e32 v9, v54, v9
	;; [unrolled: 1-line block ×5, first 2 shown]
	v_fma_f32 v42, v54, v8, -v42
	v_fmac_f32_e32 v9, v55, v8
	v_mul_f32_e32 v8, v65, v5
	v_mul_f32_e32 v5, v64, v5
	v_fma_f32 v43, v62, v10, -v43
	v_fmac_f32_e32 v11, v63, v10
	v_mul_f32_e32 v10, v61, v3
	v_fma_f32 v8, v64, v4, -v8
	v_fmac_f32_e32 v5, v65, v4
	v_fma_f32 v4, v56, v6, -v44
	v_mul_f32_e32 v3, v60, v3
	v_mul_f32_e32 v44, v59, v1
	;; [unrolled: 1-line block ×4, first 2 shown]
	v_fma_f32 v10, v60, v2, -v10
	v_fmac_f32_e32 v3, v61, v2
	v_fma_f32 v2, v58, v0, -v44
	v_fmac_f32_e32 v1, v59, v0
	v_fmac_f32_e32 v7, v57, v6
	v_add_f32_e32 v0, v42, v10
	v_add_f32_e32 v6, v9, v3
	v_sub_f32_e32 v10, v42, v10
	v_sub_f32_e32 v3, v9, v3
	v_add_f32_e32 v9, v43, v2
	v_add_f32_e32 v42, v11, v1
	v_sub_f32_e32 v2, v43, v2
	v_sub_f32_e32 v1, v11, v1
	;; [unrolled: 4-line block ×4, first 2 shown]
	v_sub_f32_e32 v0, v0, v11
	v_sub_f32_e32 v6, v6, v43
	;; [unrolled: 1-line block ×4, first 2 shown]
	v_add_f32_e32 v46, v4, v2
	v_add_f32_e32 v47, v5, v1
	v_sub_f32_e32 v48, v4, v2
	v_sub_f32_e32 v49, v5, v1
	;; [unrolled: 1-line block ×3, first 2 shown]
	v_add_f32_e32 v7, v11, v7
	v_add_f32_e32 v8, v43, v8
	v_sub_f32_e32 v1, v1, v3
	v_sub_f32_e32 v4, v10, v4
	;; [unrolled: 1-line block ×3, first 2 shown]
	v_add_f32_e32 v10, v46, v10
	v_add_f32_e32 v3, v47, v3
	;; [unrolled: 1-line block ×4, first 2 shown]
	v_mul_f32_e32 v0, 0x3f4a47b2, v0
	v_mul_f32_e32 v6, 0x3f4a47b2, v6
	;; [unrolled: 1-line block ×8, first 2 shown]
	v_fmamk_f32 v7, v7, 0xbf955555, v11
	v_fmamk_f32 v8, v8, 0xbf955555, v43
	;; [unrolled: 1-line block ×4, first 2 shown]
	v_fma_f32 v46, 0x3f3bfb3b, v44, -v46
	v_fma_f32 v47, 0x3f3bfb3b, v45, -v47
	;; [unrolled: 1-line block ×4, first 2 shown]
	v_fmamk_f32 v44, v4, 0x3eae86e6, v48
	v_fmamk_f32 v45, v5, 0x3eae86e6, v49
	v_fma_f32 v2, 0x3f5ff5aa, v2, -v48
	v_fma_f32 v1, 0x3f5ff5aa, v1, -v49
	;; [unrolled: 1-line block ×4, first 2 shown]
	v_add_f32_e32 v46, v46, v7
	v_add_f32_e32 v47, v47, v8
	;; [unrolled: 1-line block ×3, first 2 shown]
	v_fmac_f32_e32 v45, 0x3ee1c552, v3
	v_fmac_f32_e32 v2, 0x3ee1c552, v10
	;; [unrolled: 1-line block ×5, first 2 shown]
	v_mul_f32_e32 v3, v16, v19
	v_add_f32_e32 v9, v9, v7
	v_add_f32_e32 v42, v42, v8
	;; [unrolled: 1-line block ×3, first 2 shown]
	v_fmac_f32_e32 v44, 0x3ee1c552, v10
	v_sub_f32_e32 v48, v6, v4
	v_sub_f32_e32 v49, v46, v1
	v_add_f32_e32 v50, v2, v47
	v_add_f32_e32 v46, v1, v46
	v_mul_f32_e32 v1, v17, v19
	v_fmac_f32_e32 v3, v17, v18
	v_sub_f32_e32 v17, v47, v2
	v_add_f32_e32 v47, v4, v6
	v_mul_f32_e32 v4, v12, v15
	v_add_f32_e32 v7, v45, v9
	v_sub_f32_e32 v8, v42, v44
	v_add_f32_e32 v10, v5, v0
	v_sub_f32_e32 v19, v0, v5
	v_fma_f32 v2, v16, v18, -v1
	v_mul_f32_e32 v0, v43, v3
	v_mul_f32_e32 v1, v11, v3
	;; [unrolled: 1-line block ×3, first 2 shown]
	v_fmac_f32_e32 v4, v13, v14
	v_mul_f32_e32 v5, v36, v39
	v_sub_f32_e32 v45, v9, v45
	v_fma_f32 v0, v11, v2, -v0
	v_fmac_f32_e32 v1, v43, v2
	v_mul_f32_e32 v2, v37, v39
	v_fma_f32 v6, v12, v14, -v3
	v_mul_f32_e32 v9, v8, v4
	v_mul_f32_e32 v3, v7, v4
	;; [unrolled: 1-line block ×3, first 2 shown]
	v_fmac_f32_e32 v5, v37, v38
	v_mul_f32_e32 v13, v28, v31
	v_fma_f32 v11, v36, v38, -v2
	v_fma_f32 v2, v7, v6, -v9
	v_fmac_f32_e32 v3, v8, v6
	v_mul_f32_e32 v6, v33, v35
	v_fmac_f32_e32 v12, v33, v34
	v_mul_f32_e32 v4, v48, v5
	v_mul_f32_e32 v9, v29, v31
	v_fmac_f32_e32 v13, v29, v30
	v_fma_f32 v8, v32, v34, -v6
	v_mul_f32_e32 v6, v50, v12
	v_mul_f32_e32 v7, v49, v12
	v_fma_f32 v4, v10, v11, -v4
	v_mul_f32_e32 v5, v10, v5
	v_fma_f32 v14, v28, v30, -v9
	v_mul_f32_e32 v10, v17, v13
	v_mul_f32_e32 v12, v25, v27
	v_add_nc_u32_e32 v18, 30, v94
	v_fma_f32 v6, v49, v8, -v6
	v_fmac_f32_e32 v7, v50, v8
	v_mad_u64_u32 v[8:9], null, s12, v96, 0
	v_fmac_f32_e32 v5, v48, v11
	v_mul_f32_e32 v16, v24, v27
	v_fma_f32 v10, v46, v14, -v10
	v_mul_f32_e32 v11, v46, v13
	v_fma_f32 v24, v24, v26, -v12
	v_mad_u64_u32 v[12:13], null, s12, v18, 0
	v_fmac_f32_e32 v16, v25, v26
	v_fmac_f32_e32 v11, v17, v14
	v_mad_u64_u32 v[14:15], null, s13, v96, v[9:10]
	v_mul_f32_e32 v26, v20, v23
	v_mul_f32_e32 v25, v47, v16
	v_mov_b32_e32 v9, v13
	v_mul_f32_e32 v13, v21, v23
	v_add_f32_e32 v42, v44, v42
	v_fmac_f32_e32 v26, v21, v22
	v_fma_f32 v15, v19, v24, -v25
	v_mad_u64_u32 v[17:18], null, s13, v18, v[9:10]
	v_mov_b32_e32 v9, v14
	v_fma_f32 v14, v20, v22, -v13
	v_add_nc_u32_e32 v22, 46, v94
	v_mul_f32_e32 v16, v19, v16
	v_mul_f32_e32 v21, v42, v26
	v_lshlrev_b64 v[8:9], 3, v[8:9]
	v_mov_b32_e32 v13, v17
	v_mad_u64_u32 v[19:20], null, s12, v22, 0
	v_fma_f32 v17, v45, v14, -v21
	v_add_nc_u32_e32 v21, 62, v94
	v_add_co_u32 v8, vcc_lo, v40, v8
	v_add_co_ci_u32_e32 v9, vcc_lo, v41, v9, vcc_lo
	v_lshlrev_b64 v[12:13], 3, v[12:13]
	v_fmac_f32_e32 v16, v47, v24
	v_add_nc_u32_e32 v24, 0x5e, v94
	global_store_dwordx2 v[8:9], v[0:1], off
	v_mov_b32_e32 v0, v20
	v_mul_f32_e32 v18, v45, v26
	v_add_co_u32 v8, vcc_lo, v40, v12
	v_add_co_ci_u32_e32 v9, vcc_lo, v41, v13, vcc_lo
	v_mad_u64_u32 v[0:1], null, s13, v22, v[0:1]
	v_add_nc_u32_e32 v22, 0x4e, v94
	v_mad_u64_u32 v[12:13], null, s12, v21, 0
	global_store_dwordx2 v[8:9], v[2:3], off
	v_mad_u64_u32 v[8:9], null, s12, v24, 0
	v_mad_u64_u32 v[1:2], null, s12, v22, 0
	v_mov_b32_e32 v20, v0
	v_mov_b32_e32 v0, v13
	v_add_nc_u32_e32 v26, 0x6e, v94
	v_fmac_f32_e32 v18, v42, v14
	v_lshlrev_b64 v[13:14], 3, v[19:20]
	v_mad_u64_u32 v[19:20], null, s13, v21, v[0:1]
	v_mad_u64_u32 v[2:3], null, s13, v22, v[2:3]
	;; [unrolled: 1-line block ×3, first 2 shown]
	v_mov_b32_e32 v0, v9
	v_add_co_u32 v22, vcc_lo, v40, v13
	v_add_co_ci_u32_e32 v23, vcc_lo, v41, v14, vcc_lo
	v_mad_u64_u32 v[24:25], null, s13, v24, v[0:1]
	v_lshlrev_b64 v[1:2], 3, v[1:2]
	v_mov_b32_e32 v13, v19
	v_mov_b32_e32 v0, v21
	global_store_dwordx2 v[22:23], v[4:5], off
	v_lshlrev_b64 v[3:4], 3, v[12:13]
	v_mad_u64_u32 v[12:13], null, s13, v26, v[0:1]
	v_mov_b32_e32 v9, v24
	v_add_co_u32 v3, vcc_lo, v40, v3
	v_lshlrev_b64 v[8:9], 3, v[8:9]
	v_mov_b32_e32 v21, v12
	v_add_co_ci_u32_e32 v4, vcc_lo, v41, v4, vcc_lo
	v_add_co_u32 v0, vcc_lo, v40, v1
	v_lshlrev_b64 v[12:13], 3, v[20:21]
	v_add_co_ci_u32_e32 v1, vcc_lo, v41, v2, vcc_lo
	v_add_co_u32 v8, vcc_lo, v40, v8
	v_add_co_ci_u32_e32 v9, vcc_lo, v41, v9, vcc_lo
	v_add_co_u32 v12, vcc_lo, v40, v12
	v_add_co_ci_u32_e32 v13, vcc_lo, v41, v13, vcc_lo
	global_store_dwordx2 v[3:4], v[6:7], off
	global_store_dwordx2 v[0:1], v[10:11], off
	;; [unrolled: 1-line block ×4, first 2 shown]
	s_endpgm
	.section	.rodata,"a",@progbits
	.p2align	6, 0x0
	.amdhsa_kernel fft_rtc_fwd_len112_factors_4_4_7_wgs_133_tpt_7_dim2_sp_ip_CI_sbcc_twdbase8_2step_dirReg
		.amdhsa_group_segment_fixed_size 0
		.amdhsa_private_segment_fixed_size 0
		.amdhsa_kernarg_size 88
		.amdhsa_user_sgpr_count 6
		.amdhsa_user_sgpr_private_segment_buffer 1
		.amdhsa_user_sgpr_dispatch_ptr 0
		.amdhsa_user_sgpr_queue_ptr 0
		.amdhsa_user_sgpr_kernarg_segment_ptr 1
		.amdhsa_user_sgpr_dispatch_id 0
		.amdhsa_user_sgpr_flat_scratch_init 0
		.amdhsa_user_sgpr_private_segment_size 0
		.amdhsa_wavefront_size32 1
		.amdhsa_uses_dynamic_stack 0
		.amdhsa_system_sgpr_private_segment_wavefront_offset 0
		.amdhsa_system_sgpr_workgroup_id_x 1
		.amdhsa_system_sgpr_workgroup_id_y 0
		.amdhsa_system_sgpr_workgroup_id_z 0
		.amdhsa_system_sgpr_workgroup_info 0
		.amdhsa_system_vgpr_workitem_id 0
		.amdhsa_next_free_vgpr 133
		.amdhsa_next_free_sgpr 23
		.amdhsa_reserve_vcc 1
		.amdhsa_reserve_flat_scratch 0
		.amdhsa_float_round_mode_32 0
		.amdhsa_float_round_mode_16_64 0
		.amdhsa_float_denorm_mode_32 3
		.amdhsa_float_denorm_mode_16_64 3
		.amdhsa_dx10_clamp 1
		.amdhsa_ieee_mode 1
		.amdhsa_fp16_overflow 0
		.amdhsa_workgroup_processor_mode 1
		.amdhsa_memory_ordered 1
		.amdhsa_forward_progress 0
		.amdhsa_shared_vgpr_count 0
		.amdhsa_exception_fp_ieee_invalid_op 0
		.amdhsa_exception_fp_denorm_src 0
		.amdhsa_exception_fp_ieee_div_zero 0
		.amdhsa_exception_fp_ieee_overflow 0
		.amdhsa_exception_fp_ieee_underflow 0
		.amdhsa_exception_fp_ieee_inexact 0
		.amdhsa_exception_int_div_zero 0
	.end_amdhsa_kernel
	.text
.Lfunc_end0:
	.size	fft_rtc_fwd_len112_factors_4_4_7_wgs_133_tpt_7_dim2_sp_ip_CI_sbcc_twdbase8_2step_dirReg, .Lfunc_end0-fft_rtc_fwd_len112_factors_4_4_7_wgs_133_tpt_7_dim2_sp_ip_CI_sbcc_twdbase8_2step_dirReg
                                        ; -- End function
	.section	.AMDGPU.csdata,"",@progbits
; Kernel info:
; codeLenInByte = 10704
; NumSgprs: 25
; NumVgprs: 133
; ScratchSize: 0
; MemoryBound: 0
; FloatMode: 240
; IeeeMode: 1
; LDSByteSize: 0 bytes/workgroup (compile time only)
; SGPRBlocks: 3
; VGPRBlocks: 16
; NumSGPRsForWavesPerEU: 25
; NumVGPRsForWavesPerEU: 133
; Occupancy: 7
; WaveLimiterHint : 1
; COMPUTE_PGM_RSRC2:SCRATCH_EN: 0
; COMPUTE_PGM_RSRC2:USER_SGPR: 6
; COMPUTE_PGM_RSRC2:TRAP_HANDLER: 0
; COMPUTE_PGM_RSRC2:TGID_X_EN: 1
; COMPUTE_PGM_RSRC2:TGID_Y_EN: 0
; COMPUTE_PGM_RSRC2:TGID_Z_EN: 0
; COMPUTE_PGM_RSRC2:TIDIG_COMP_CNT: 0
	.text
	.p2alignl 6, 3214868480
	.fill 48, 4, 3214868480
	.type	__hip_cuid_67648dfb1d956184,@object ; @__hip_cuid_67648dfb1d956184
	.section	.bss,"aw",@nobits
	.globl	__hip_cuid_67648dfb1d956184
__hip_cuid_67648dfb1d956184:
	.byte	0                               ; 0x0
	.size	__hip_cuid_67648dfb1d956184, 1

	.ident	"AMD clang version 19.0.0git (https://github.com/RadeonOpenCompute/llvm-project roc-6.4.0 25133 c7fe45cf4b819c5991fe208aaa96edf142730f1d)"
	.section	".note.GNU-stack","",@progbits
	.addrsig
	.addrsig_sym __hip_cuid_67648dfb1d956184
	.amdgpu_metadata
---
amdhsa.kernels:
  - .args:
      - .actual_access:  read_only
        .address_space:  global
        .offset:         0
        .size:           8
        .value_kind:     global_buffer
      - .address_space:  global
        .offset:         8
        .size:           8
        .value_kind:     global_buffer
      - .actual_access:  read_only
        .address_space:  global
        .offset:         16
        .size:           8
        .value_kind:     global_buffer
      - .actual_access:  read_only
        .address_space:  global
        .offset:         24
        .size:           8
        .value_kind:     global_buffer
      - .offset:         32
        .size:           8
        .value_kind:     by_value
      - .actual_access:  read_only
        .address_space:  global
        .offset:         40
        .size:           8
        .value_kind:     global_buffer
      - .actual_access:  read_only
        .address_space:  global
        .offset:         48
        .size:           8
        .value_kind:     global_buffer
      - .offset:         56
        .size:           4
        .value_kind:     by_value
      - .actual_access:  read_only
        .address_space:  global
        .offset:         64
        .size:           8
        .value_kind:     global_buffer
      - .actual_access:  read_only
        .address_space:  global
        .offset:         72
        .size:           8
        .value_kind:     global_buffer
      - .address_space:  global
        .offset:         80
        .size:           8
        .value_kind:     global_buffer
    .group_segment_fixed_size: 0
    .kernarg_segment_align: 8
    .kernarg_segment_size: 88
    .language:       OpenCL C
    .language_version:
      - 2
      - 0
    .max_flat_workgroup_size: 133
    .name:           fft_rtc_fwd_len112_factors_4_4_7_wgs_133_tpt_7_dim2_sp_ip_CI_sbcc_twdbase8_2step_dirReg
    .private_segment_fixed_size: 0
    .sgpr_count:     25
    .sgpr_spill_count: 0
    .symbol:         fft_rtc_fwd_len112_factors_4_4_7_wgs_133_tpt_7_dim2_sp_ip_CI_sbcc_twdbase8_2step_dirReg.kd
    .uniform_work_group_size: 1
    .uses_dynamic_stack: false
    .vgpr_count:     133
    .vgpr_spill_count: 0
    .wavefront_size: 32
    .workgroup_processor_mode: 1
amdhsa.target:   amdgcn-amd-amdhsa--gfx1030
amdhsa.version:
  - 1
  - 2
...

	.end_amdgpu_metadata
